;; amdgpu-corpus repo=ROCm/rocFFT kind=compiled arch=gfx1030 opt=O3
	.text
	.amdgcn_target "amdgcn-amd-amdhsa--gfx1030"
	.amdhsa_code_object_version 6
	.protected	fft_rtc_back_len595_factors_7_17_5_wgs_51_tpt_17_halfLds_dp_ip_CI_unitstride_sbrr_dirReg ; -- Begin function fft_rtc_back_len595_factors_7_17_5_wgs_51_tpt_17_halfLds_dp_ip_CI_unitstride_sbrr_dirReg
	.globl	fft_rtc_back_len595_factors_7_17_5_wgs_51_tpt_17_halfLds_dp_ip_CI_unitstride_sbrr_dirReg
	.p2align	8
	.type	fft_rtc_back_len595_factors_7_17_5_wgs_51_tpt_17_halfLds_dp_ip_CI_unitstride_sbrr_dirReg,@function
fft_rtc_back_len595_factors_7_17_5_wgs_51_tpt_17_halfLds_dp_ip_CI_unitstride_sbrr_dirReg: ; @fft_rtc_back_len595_factors_7_17_5_wgs_51_tpt_17_halfLds_dp_ip_CI_unitstride_sbrr_dirReg
; %bb.0:
	s_load_dwordx4 s[8:11], s[4:5], 0x0
	v_mul_u32_u24_e32 v1, 0xf10, v0
	s_mov_b64 s[58:59], s[2:3]
	s_mov_b64 s[56:57], s[0:1]
	s_clause 0x1
	s_load_dwordx2 s[2:3], s[4:5], 0x50
	s_load_dwordx2 s[12:13], s[4:5], 0x18
	v_mov_b32_e32 v6, 0
	v_lshrrev_b32_e32 v2, 16, v1
	v_mov_b32_e32 v1, 0
	v_mov_b32_e32 v7, 0
	s_add_u32 s56, s56, s7
	s_addc_u32 s57, s57, 0
	v_mad_u64_u32 v[4:5], null, s6, 3, v[2:3]
	v_mov_b32_e32 v5, v1
	v_mov_b32_e32 v2, v4
	s_waitcnt lgkmcnt(0)
	v_cmp_lt_u64_e64 s0, s[10:11], 2
	v_mov_b32_e32 v3, v5
	s_and_b32 vcc_lo, exec_lo, s0
	s_cbranch_vccnz .LBB0_8
; %bb.1:
	s_load_dwordx2 s[0:1], s[4:5], 0x10
	v_mov_b32_e32 v6, 0
	v_mov_b32_e32 v9, v5
	s_add_u32 s6, s12, 8
	v_mov_b32_e32 v7, 0
	v_mov_b32_e32 v8, v4
	s_addc_u32 s7, s13, 0
	s_mov_b64 s[16:17], 1
	s_waitcnt lgkmcnt(0)
	s_add_u32 s14, s0, 8
	s_addc_u32 s15, s1, 0
.LBB0_2:                                ; =>This Inner Loop Header: Depth=1
	s_load_dwordx2 s[18:19], s[14:15], 0x0
	s_waitcnt lgkmcnt(0)
	v_or_b32_e32 v2, s19, v9
	v_cmp_ne_u64_e32 vcc_lo, 0, v[1:2]
                                        ; implicit-def: $vgpr2_vgpr3
	s_and_saveexec_b32 s0, vcc_lo
	s_xor_b32 s1, exec_lo, s0
	s_cbranch_execz .LBB0_4
; %bb.3:                                ;   in Loop: Header=BB0_2 Depth=1
	v_cvt_f32_u32_e32 v2, s18
	v_cvt_f32_u32_e32 v3, s19
	s_sub_u32 s0, 0, s18
	s_subb_u32 s20, 0, s19
	v_fmac_f32_e32 v2, 0x4f800000, v3
	v_rcp_f32_e32 v2, v2
	v_mul_f32_e32 v2, 0x5f7ffffc, v2
	v_mul_f32_e32 v3, 0x2f800000, v2
	v_trunc_f32_e32 v3, v3
	v_fmac_f32_e32 v2, 0xcf800000, v3
	v_cvt_u32_f32_e32 v3, v3
	v_cvt_u32_f32_e32 v2, v2
	v_mul_lo_u32 v5, s0, v3
	v_mul_hi_u32 v10, s0, v2
	v_mul_lo_u32 v11, s20, v2
	v_add_nc_u32_e32 v5, v10, v5
	v_mul_lo_u32 v10, s0, v2
	v_add_nc_u32_e32 v5, v5, v11
	v_mul_hi_u32 v11, v2, v10
	v_mul_lo_u32 v12, v2, v5
	v_mul_hi_u32 v13, v2, v5
	v_mul_hi_u32 v14, v3, v10
	v_mul_lo_u32 v10, v3, v10
	v_mul_hi_u32 v15, v3, v5
	v_mul_lo_u32 v5, v3, v5
	v_add_co_u32 v11, vcc_lo, v11, v12
	v_add_co_ci_u32_e32 v12, vcc_lo, 0, v13, vcc_lo
	v_add_co_u32 v10, vcc_lo, v11, v10
	v_add_co_ci_u32_e32 v10, vcc_lo, v12, v14, vcc_lo
	v_add_co_ci_u32_e32 v11, vcc_lo, 0, v15, vcc_lo
	v_add_co_u32 v5, vcc_lo, v10, v5
	v_add_co_ci_u32_e32 v10, vcc_lo, 0, v11, vcc_lo
	v_add_co_u32 v2, vcc_lo, v2, v5
	v_add_co_ci_u32_e32 v3, vcc_lo, v3, v10, vcc_lo
	v_mul_hi_u32 v5, s0, v2
	v_mul_lo_u32 v11, s20, v2
	v_mul_lo_u32 v10, s0, v3
	v_add_nc_u32_e32 v5, v5, v10
	v_mul_lo_u32 v10, s0, v2
	v_add_nc_u32_e32 v5, v5, v11
	v_mul_hi_u32 v11, v2, v10
	v_mul_lo_u32 v12, v2, v5
	v_mul_hi_u32 v13, v2, v5
	v_mul_hi_u32 v14, v3, v10
	v_mul_lo_u32 v10, v3, v10
	v_mul_hi_u32 v15, v3, v5
	v_mul_lo_u32 v5, v3, v5
	v_add_co_u32 v11, vcc_lo, v11, v12
	v_add_co_ci_u32_e32 v12, vcc_lo, 0, v13, vcc_lo
	v_add_co_u32 v10, vcc_lo, v11, v10
	v_add_co_ci_u32_e32 v10, vcc_lo, v12, v14, vcc_lo
	v_add_co_ci_u32_e32 v11, vcc_lo, 0, v15, vcc_lo
	v_add_co_u32 v5, vcc_lo, v10, v5
	v_add_co_ci_u32_e32 v10, vcc_lo, 0, v11, vcc_lo
	v_add_co_u32 v5, vcc_lo, v2, v5
	v_add_co_ci_u32_e32 v12, vcc_lo, v3, v10, vcc_lo
	v_mul_hi_u32 v14, v8, v5
	v_mad_u64_u32 v[10:11], null, v9, v5, 0
	v_mad_u64_u32 v[2:3], null, v8, v12, 0
	;; [unrolled: 1-line block ×3, first 2 shown]
	v_add_co_u32 v2, vcc_lo, v14, v2
	v_add_co_ci_u32_e32 v3, vcc_lo, 0, v3, vcc_lo
	v_add_co_u32 v2, vcc_lo, v2, v10
	v_add_co_ci_u32_e32 v2, vcc_lo, v3, v11, vcc_lo
	v_add_co_ci_u32_e32 v3, vcc_lo, 0, v13, vcc_lo
	v_add_co_u32 v5, vcc_lo, v2, v12
	v_add_co_ci_u32_e32 v10, vcc_lo, 0, v3, vcc_lo
	v_mul_lo_u32 v11, s19, v5
	v_mad_u64_u32 v[2:3], null, s18, v5, 0
	v_mul_lo_u32 v12, s18, v10
	v_sub_co_u32 v2, vcc_lo, v8, v2
	v_add3_u32 v3, v3, v12, v11
	v_sub_nc_u32_e32 v11, v9, v3
	v_subrev_co_ci_u32_e64 v11, s0, s19, v11, vcc_lo
	v_add_co_u32 v12, s0, v5, 2
	v_add_co_ci_u32_e64 v13, s0, 0, v10, s0
	v_sub_co_u32 v14, s0, v2, s18
	v_sub_co_ci_u32_e32 v3, vcc_lo, v9, v3, vcc_lo
	v_subrev_co_ci_u32_e64 v11, s0, 0, v11, s0
	v_cmp_le_u32_e32 vcc_lo, s18, v14
	v_cmp_eq_u32_e64 s0, s19, v3
	v_cndmask_b32_e64 v14, 0, -1, vcc_lo
	v_cmp_le_u32_e32 vcc_lo, s19, v11
	v_cndmask_b32_e64 v15, 0, -1, vcc_lo
	v_cmp_le_u32_e32 vcc_lo, s18, v2
	v_cndmask_b32_e64 v2, 0, -1, vcc_lo
	v_cmp_le_u32_e32 vcc_lo, s19, v3
	v_cndmask_b32_e64 v16, 0, -1, vcc_lo
	v_cmp_eq_u32_e32 vcc_lo, s19, v11
	v_cndmask_b32_e64 v2, v16, v2, s0
	v_cndmask_b32_e32 v11, v15, v14, vcc_lo
	v_add_co_u32 v14, vcc_lo, v5, 1
	v_add_co_ci_u32_e32 v15, vcc_lo, 0, v10, vcc_lo
	v_cmp_ne_u32_e32 vcc_lo, 0, v11
	v_cndmask_b32_e32 v3, v15, v13, vcc_lo
	v_cndmask_b32_e32 v11, v14, v12, vcc_lo
	v_cmp_ne_u32_e32 vcc_lo, 0, v2
	v_cndmask_b32_e32 v3, v10, v3, vcc_lo
	v_cndmask_b32_e32 v2, v5, v11, vcc_lo
.LBB0_4:                                ;   in Loop: Header=BB0_2 Depth=1
	s_andn2_saveexec_b32 s0, s1
	s_cbranch_execz .LBB0_6
; %bb.5:                                ;   in Loop: Header=BB0_2 Depth=1
	v_cvt_f32_u32_e32 v2, s18
	s_sub_i32 s1, 0, s18
	v_rcp_iflag_f32_e32 v2, v2
	v_mul_f32_e32 v2, 0x4f7ffffe, v2
	v_cvt_u32_f32_e32 v2, v2
	v_mul_lo_u32 v3, s1, v2
	v_mul_hi_u32 v3, v2, v3
	v_add_nc_u32_e32 v2, v2, v3
	v_mul_hi_u32 v2, v8, v2
	v_mul_lo_u32 v3, v2, s18
	v_add_nc_u32_e32 v5, 1, v2
	v_sub_nc_u32_e32 v3, v8, v3
	v_subrev_nc_u32_e32 v10, s18, v3
	v_cmp_le_u32_e32 vcc_lo, s18, v3
	v_cndmask_b32_e32 v3, v3, v10, vcc_lo
	v_cndmask_b32_e32 v2, v2, v5, vcc_lo
	v_cmp_le_u32_e32 vcc_lo, s18, v3
	v_add_nc_u32_e32 v5, 1, v2
	v_mov_b32_e32 v3, v1
	v_cndmask_b32_e32 v2, v2, v5, vcc_lo
.LBB0_6:                                ;   in Loop: Header=BB0_2 Depth=1
	s_or_b32 exec_lo, exec_lo, s0
	s_load_dwordx2 s[0:1], s[6:7], 0x0
	v_mul_lo_u32 v5, v3, s18
	v_mul_lo_u32 v12, v2, s19
	v_mad_u64_u32 v[10:11], null, v2, s18, 0
	s_add_u32 s16, s16, 1
	s_addc_u32 s17, s17, 0
	s_add_u32 s6, s6, 8
	s_addc_u32 s7, s7, 0
	;; [unrolled: 2-line block ×3, first 2 shown]
	v_add3_u32 v5, v11, v12, v5
	v_sub_co_u32 v8, vcc_lo, v8, v10
	v_sub_co_ci_u32_e32 v5, vcc_lo, v9, v5, vcc_lo
	s_waitcnt lgkmcnt(0)
	v_mul_lo_u32 v9, s1, v8
	v_mul_lo_u32 v5, s0, v5
	v_mad_u64_u32 v[6:7], null, s0, v8, v[6:7]
	v_cmp_ge_u64_e64 s0, s[16:17], s[10:11]
	s_and_b32 vcc_lo, exec_lo, s0
	v_add3_u32 v7, v9, v7, v5
	s_cbranch_vccnz .LBB0_8
; %bb.7:                                ;   in Loop: Header=BB0_2 Depth=1
	v_mov_b32_e32 v9, v3
	v_mov_b32_e32 v8, v2
	s_branch .LBB0_2
.LBB0_8:
	s_lshl_b64 s[0:1], s[10:11], 3
                                        ; implicit-def: $vgpr136_vgpr137
                                        ; implicit-def: $vgpr124_vgpr125
                                        ; implicit-def: $vgpr116_vgpr117
                                        ; implicit-def: $vgpr104_vgpr105
                                        ; implicit-def: $vgpr92_vgpr93
                                        ; implicit-def: $vgpr88_vgpr89
                                        ; implicit-def: $vgpr68_vgpr69
                                        ; implicit-def: $vgpr160_vgpr161
                                        ; implicit-def: $vgpr156_vgpr157
                                        ; implicit-def: $vgpr148_vgpr149
                                        ; implicit-def: $vgpr140_vgpr141
                                        ; implicit-def: $vgpr78_vgpr79
                                        ; implicit-def: $vgpr132_vgpr133
                                        ; implicit-def: $vgpr100_vgpr101
                                        ; implicit-def: $vgpr176_vgpr177
                                        ; implicit-def: $vgpr180_vgpr181
                                        ; implicit-def: $vgpr164_vgpr165
                                        ; implicit-def: $vgpr120_vgpr121
                                        ; implicit-def: $vgpr108_vgpr109
                                        ; implicit-def: $vgpr56_vgpr57
                                        ; implicit-def: $vgpr212_vgpr213
                                        ; implicit-def: $vgpr208_vgpr209
                                        ; implicit-def: $vgpr200_vgpr201
                                        ; implicit-def: $vgpr204_vgpr205
                                        ; implicit-def: $vgpr144_vgpr145
                                        ; implicit-def: $vgpr152_vgpr153
                                        ; implicit-def: $vgpr62_vgpr63
                                        ; implicit-def: $vgpr228_vgpr229
                                        ; implicit-def: $vgpr224_vgpr225
                                        ; implicit-def: $vgpr220_vgpr221
                                        ; implicit-def: $vgpr216_vgpr217
                                        ; implicit-def: $vgpr168_vgpr169
                                        ; implicit-def: $vgpr192_vgpr193
                                        ; implicit-def: $vgpr74_vgpr75
	s_add_u32 s0, s12, s0
	s_addc_u32 s1, s13, s1
	s_load_dwordx2 s[0:1], s[0:1], 0x0
	s_load_dwordx2 s[4:5], s[4:5], 0x20
	s_waitcnt lgkmcnt(0)
	v_mul_lo_u32 v1, s0, v3
	v_mul_lo_u32 v8, s1, v2
	v_mad_u64_u32 v[5:6], null, s0, v2, v[6:7]
	v_mul_hi_u32 v7, 0xf0f0f10, v0
	v_cmp_gt_u64_e32 vcc_lo, s[4:5], v[2:3]
	v_add3_u32 v6, v8, v6, v1
	v_mul_u32_u24_e32 v1, 17, v7
	v_lshlrev_b64 v[2:3], 4, v[5:6]
	buffer_store_dword v2, off, s[56:59], 0 offset:8 ; 4-byte Folded Spill
	buffer_store_dword v3, off, s[56:59], 0 offset:12 ; 4-byte Folded Spill
	v_sub_nc_u32_e32 v232, v0, v1
                                        ; implicit-def: $vgpr2_vgpr3
	s_and_saveexec_b32 s1, vcc_lo
	s_cbranch_execz .LBB0_10
; %bb.9:
	s_clause 0x1
	buffer_load_dword v2, off, s[56:59], 0 offset:8
	buffer_load_dword v3, off, s[56:59], 0 offset:12
	v_mov_b32_e32 v233, 0
	v_lshlrev_b64 v[0:1], 4, v[232:233]
	s_waitcnt vmcnt(1)
	v_add_co_u32 v2, s0, s2, v2
	s_waitcnt vmcnt(0)
	v_add_co_ci_u32_e64 v3, s0, s3, v3, s0
	v_add_co_u32 v5, s0, v2, v0
	v_add_co_ci_u32_e64 v6, s0, v3, v1, s0
	v_or_b32_e32 v0, 0x220, v232
	v_mov_b32_e32 v1, v233
	v_add_co_u32 v7, s0, 0x800, v5
	v_add_co_ci_u32_e64 v8, s0, 0, v6, s0
	v_add_co_u32 v9, s0, 0x1000, v5
	v_lshlrev_b64 v[0:1], 4, v[0:1]
	v_add_co_ci_u32_e64 v10, s0, 0, v6, s0
	v_add_co_u32 v11, s0, 0x1800, v5
	v_add_co_ci_u32_e64 v12, s0, 0, v6, s0
	v_add_co_u32 v0, s0, v2, v0
	;; [unrolled: 2-line block ×3, first 2 shown]
	s_clause 0x3
	global_load_dwordx4 v[72:75], v[5:6], off
	global_load_dwordx4 v[60:63], v[5:6], off offset:272
	global_load_dwordx4 v[166:169], v[7:8], off offset:672
	global_load_dwordx4 v[142:145], v[7:8], off offset:944
	v_add_co_ci_u32_e64 v14, s0, 0, v6, s0
	s_clause 0x1e
	global_load_dwordx4 v[150:153], v[5:6], off offset:1632
	global_load_dwordx4 v[106:109], v[5:6], off offset:1904
	global_load_dwordx4 v[98:101], v[0:1], off
	global_load_dwordx4 v[54:57], v[5:6], off offset:544
	global_load_dwordx4 v[0:3], v[5:6], off offset:816
	;; [unrolled: 1-line block ×28, first 2 shown]
.LBB0_10:
	s_or_b32 exec_lo, exec_lo, s1
	s_waitcnt vmcnt(1)
	v_add_f64 v[5:6], v[158:159], v[130:131]
	v_add_f64 v[7:8], v[154:155], v[76:77]
	;; [unrolled: 1-line block ×3, first 2 shown]
	v_add_f64 v[11:12], v[78:79], -v[156:157]
	v_add_f64 v[13:14], v[148:149], -v[140:141]
	;; [unrolled: 1-line block ×3, first 2 shown]
	v_add_f64 v[17:18], v[226:227], v[190:191]
	v_add_f64 v[19:20], v[222:223], v[166:167]
	;; [unrolled: 1-line block ×3, first 2 shown]
	v_add_f64 v[25:26], v[168:169], -v[224:225]
	v_add_f64 v[27:28], v[220:221], -v[216:217]
	v_add_f64 v[29:30], v[192:193], -v[228:229]
	s_mov_b32 s10, 0x37e14327
	s_mov_b32 s6, 0x36b3c0b5
	;; [unrolled: 1-line block ×8, first 2 shown]
	v_add_f64 v[31:32], v[210:211], v[150:151]
	v_add_f64 v[33:34], v[206:207], v[142:143]
	;; [unrolled: 1-line block ×4, first 2 shown]
	v_add_f64 v[41:42], v[5:6], -v[9:10]
	v_add_f64 v[5:6], v[7:8], -v[5:6]
	;; [unrolled: 1-line block ×4, first 2 shown]
	v_add_f64 v[58:59], v[174:175], v[118:119]
	v_add_f64 v[45:46], v[19:20], v[17:18]
	v_add_f64 v[96:97], v[17:18], -v[23:24]
	s_mov_b32 s18, 0xaaaaaaaa
	s_mov_b32 s20, 0x5476071b
	v_add_f64 v[110:111], v[25:26], -v[29:30]
	s_mov_b32 s24, 0xb247c609
	s_mov_b32 s19, 0xbff2aaaa
	;; [unrolled: 1-line block ×8, first 2 shown]
	v_mul_hi_u32 v53, 0xaaaaaaab, v4
	v_add_f64 v[35:36], v[198:199], v[202:203]
	v_add_f64 v[37:38], v[144:145], -v[208:209]
	v_add_f64 v[21:22], v[9:10], v[21:22]
	v_add_f64 v[9:10], v[9:10], -v[7:8]
	;; [unrolled: 2-line block ×3, first 2 shown]
	v_add_f64 v[13:14], v[15:16], -v[13:14]
	v_mul_f64 v[41:42], v[41:42], s[10:11]
	v_mul_f64 v[43:44], v[43:44], s[12:13]
	;; [unrolled: 1-line block ×3, first 2 shown]
	v_add_f64 v[45:46], v[23:24], v[45:46]
	v_add_f64 v[23:24], v[23:24], -v[19:20]
	v_add_f64 v[25:26], v[27:28], v[25:26]
	v_add_f64 v[39:40], v[200:201], -v[204:205]
	v_add_f64 v[49:50], v[152:153], -v[212:213]
	s_waitcnt vmcnt(0)
	v_add_f64 v[84:85], v[134:135], v[86:87]
	v_add_f64 v[94:95], v[122:123], v[90:91]
	v_add_f64 v[27:28], v[29:30], -v[27:28]
	v_add_f64 v[17:18], v[19:20], -v[17:18]
	v_mul_f64 v[19:20], v[96:97], s[10:11]
	v_lshrrev_b32_e32 v53, 1, v53
	v_add_f64 v[64:65], v[178:179], v[162:163]
	v_add_f64 v[70:71], v[120:121], -v[176:177]
	v_add_f64 v[80:81], v[180:181], -v[164:165]
	v_add_f64 v[126:127], v[0:1], v[21:22]
	v_mul_f64 v[0:1], v[9:10], s[6:7]
	v_add_f64 v[7:8], v[7:8], v[15:16]
	v_mul_f64 v[11:12], v[11:12], s[12:13]
	v_mul_f64 v[15:16], v[110:111], s[4:5]
	v_fma_f64 v[96:97], v[5:6], s[22:23], -v[41:42]
	v_fma_f64 v[47:48], v[47:48], s[4:5], -v[43:44]
	v_fma_f64 v[112:113], v[13:14], s[16:17], -v[112:113]
	v_lshl_add_u32 v53, v53, 1, v53
	v_add_f64 v[182:183], v[33:34], v[31:32]
	v_add_f64 v[196:197], v[58:59], v[51:52]
	v_add_f64 v[82:83], v[108:109], -v[100:101]
	v_add_f64 v[72:73], v[72:73], v[45:46]
	v_sub_nc_u32_e32 v4, v4, v53
	v_add_f64 v[25:26], v[25:26], v[29:30]
	v_mul_f64 v[29:30], v[23:24], s[6:7]
	s_mov_b32 s14, 0x37c3f68c
	s_mov_b32 s15, 0xbfdc38aa
	v_add_f64 v[128:129], v[114:115], v[102:103]
	v_add_f64 v[170:171], v[92:93], -v[124:125]
	v_add_f64 v[172:173], v[116:117], -v[104:105]
	v_mul_u32_u24_e32 v53, 0x253, v4
	v_fma_f64 v[21:22], v[21:22], s[18:19], v[126:127]
	v_fma_f64 v[0:1], v[5:6], s[20:21], -v[0:1]
	v_add_f64 v[4:5], v[88:89], -v[136:137]
	v_add_f64 v[184:185], v[31:32], -v[35:36]
	v_add_f64 v[188:189], v[39:40], v[37:38]
	v_add_f64 v[194:195], v[39:40], -v[37:38]
	v_add_f64 v[37:38], v[37:38], -v[49:50]
	v_fma_f64 v[230:231], v[27:28], s[24:25], v[11:12]
	v_fma_f64 v[11:12], v[110:111], s[4:5], -v[11:12]
	v_fma_f64 v[15:16], v[27:28], s[16:17], -v[15:16]
	v_fma_f64 v[27:28], v[7:8], s[14:15], v[47:48]
	v_fma_f64 v[47:48], v[7:8], s[14:15], v[112:113]
	v_add_f64 v[233:234], v[94:95], v[84:85]
	v_add_f64 v[186:187], v[35:36], -v[33:34]
	v_add_f64 v[112:113], v[51:52], -v[64:65]
	v_add_f64 v[236:237], v[64:65], -v[58:59]
	v_add_f64 v[35:36], v[35:36], v[182:183]
	v_add_f64 v[182:183], v[80:81], -v[70:71]
	v_add_f64 v[64:65], v[64:65], v[196:197]
	v_fma_f64 v[23:24], v[23:24], s[6:7], v[19:20]
	v_fma_f64 v[19:20], v[17:18], s[22:23], -v[19:20]
	v_fma_f64 v[45:46], v[45:46], s[18:19], v[72:73]
	v_add_f64 v[96:97], v[96:97], v[21:22]
	v_add_f64 v[110:111], v[0:1], v[21:22]
	v_add_f64 v[238:239], v[70:71], -v[82:83]
	v_fma_f64 v[17:18], v[17:18], s[20:21], -v[29:30]
	v_add_f64 v[39:40], v[49:50], -v[39:40]
	v_mul_f64 v[194:195], v[194:195], s[12:13]
	v_add_f64 v[49:50], v[188:189], v[49:50]
	v_mul_f64 v[188:189], v[37:38], s[4:5]
	v_fma_f64 v[29:30], v[25:26], s[14:15], v[230:231]
	v_fma_f64 v[11:12], v[25:26], s[14:15], v[11:12]
	;; [unrolled: 1-line block ×3, first 2 shown]
	v_add_f64 v[230:231], v[172:173], -v[170:171]
	v_lshlrev_b32_e32 v243, 3, v53
	v_add_f64 v[31:32], v[33:34], -v[31:32]
	v_mul_f64 v[33:34], v[186:187], s[6:7]
	v_add_f64 v[70:71], v[80:81], v[70:71]
	v_add_f64 v[60:61], v[60:61], v[35:36]
	v_add_f64 v[80:81], v[82:83], -v[80:81]
	v_mul_f64 v[112:113], v[112:113], s[10:11]
	v_add_f64 v[53:54], v[54:55], v[64:65]
	v_mul_f64 v[182:183], v[182:183], s[12:13]
	v_add_f64 v[23:24], v[23:24], v[45:46]
	v_add_f64 v[25:26], v[47:48], v[96:97]
	v_add_f64 v[196:197], v[110:111], -v[27:28]
	v_add_f64 v[27:28], v[27:28], v[110:111]
	v_add_f64 v[47:48], v[96:97], -v[47:48]
	v_mul_f64 v[96:97], v[184:185], s[10:11]
	v_add_f64 v[110:111], v[128:129], v[233:234]
	v_add_f64 v[184:185], v[84:85], -v[128:129]
	v_add_f64 v[233:234], v[170:171], -v[4:5]
	;; [unrolled: 1-line block ×3, first 2 shown]
	v_add_f64 v[19:20], v[19:20], v[45:46]
	v_add_f64 v[51:52], v[58:59], -v[51:52]
	v_mul_f64 v[58:59], v[236:237], s[6:7]
	v_add_f64 v[17:18], v[17:18], v[45:46]
	v_mul_f64 v[45:46], v[238:239], s[4:5]
	v_fma_f64 v[240:241], v[39:40], s[24:25], v[194:195]
	v_fma_f64 v[39:40], v[39:40], s[16:17], -v[188:189]
	v_add_f64 v[84:85], v[94:95], -v[84:85]
	v_add_f64 v[94:95], v[172:173], v[170:171]
	v_add_f64 v[172:173], v[4:5], -v[172:173]
	v_fma_f64 v[37:38], v[37:38], s[4:5], -v[194:195]
	v_fma_f64 v[35:36], v[35:36], s[18:19], v[60:61]
	v_fma_f64 v[64:65], v[64:65], s[18:19], v[53:54]
	;; [unrolled: 1-line block ×4, first 2 shown]
	v_add_nc_u32_e32 v235, 0, v243
	v_cmp_eq_u32_e64 s0, 0, v232
	v_fma_f64 v[186:187], v[186:187], s[6:7], v[96:97]
	v_add_f64 v[66:67], v[66:67], v[110:111]
	v_mul_f64 v[170:171], v[184:185], s[10:11]
	v_mul_f64 v[184:185], v[230:231], s[12:13]
	;; [unrolled: 1-line block ×4, first 2 shown]
	v_fma_f64 v[96:97], v[31:32], s[22:23], -v[96:97]
	v_fma_f64 v[31:32], v[31:32], s[20:21], -v[33:34]
	v_add_f64 v[33:34], v[70:71], v[82:83]
	v_fma_f64 v[70:71], v[236:237], s[6:7], v[112:113]
	v_fma_f64 v[82:83], v[80:81], s[24:25], v[182:183]
	v_fma_f64 v[58:59], v[51:52], s[20:21], -v[58:59]
	v_fma_f64 v[51:52], v[51:52], s[22:23], -v[112:113]
	;; [unrolled: 1-line block ×4, first 2 shown]
	v_add_f64 v[4:5], v[94:95], v[4:5]
	v_fma_f64 v[230:231], v[49:50], s[14:15], v[240:241]
	v_fma_f64 v[37:38], v[49:50], s[14:15], v[37:38]
	;; [unrolled: 1-line block ×3, first 2 shown]
	v_add_f64 v[9:10], v[9:10], v[21:22]
	v_fma_f64 v[6:7], v[7:8], s[14:15], v[13:14]
	v_mad_u32_u24 v0, v232, 56, v235
                                        ; implicit-def: $vgpr253_vgpr254
	v_fma_f64 v[41:42], v[110:111], s[18:19], v[66:67]
	v_fma_f64 v[43:44], v[128:129], s[6:7], v[170:171]
	v_fma_f64 v[94:95], v[84:85], s[22:23], -v[170:171]
	v_fma_f64 v[110:111], v[172:173], s[24:25], v[184:185]
	v_fma_f64 v[112:113], v[172:173], s[16:17], -v[188:189]
	v_fma_f64 v[84:85], v[84:85], s[20:21], -v[194:195]
	v_fma_f64 v[128:129], v[233:234], s[4:5], -v[184:185]
	v_add_f64 v[49:50], v[96:97], v[35:36]
	v_add_f64 v[31:32], v[31:32], v[35:36]
	v_add_f64 v[70:71], v[70:71], v[64:65]
	v_fma_f64 v[82:83], v[33:34], s[14:15], v[82:83]
	v_add_f64 v[58:59], v[58:59], v[64:65]
	v_add_f64 v[51:52], v[51:52], v[64:65]
	v_fma_f64 v[45:46], v[33:34], s[14:15], v[45:46]
	v_fma_f64 v[33:34], v[33:34], s[14:15], v[80:81]
	v_add_f64 v[170:171], v[186:187], v[35:36]
	v_add_f64 v[35:36], v[29:30], v[23:24]
	v_add_nc_u32_e32 v1, 0xb38, v0
	v_add_f64 v[64:65], v[15:16], v[19:20]
	v_add_f64 v[80:81], v[17:18], -v[11:12]
	v_add_f64 v[15:16], v[19:20], -v[15:16]
	v_add_nc_u32_e32 v242, 0xb48, v0
	v_add_f64 v[11:12], v[11:12], v[17:18]
	v_add_f64 v[13:14], v[43:44], v[41:42]
	;; [unrolled: 1-line block ×3, first 2 shown]
	v_fma_f64 v[43:44], v[4:5], s[14:15], v[110:111]
	v_fma_f64 v[94:95], v[4:5], s[14:15], v[112:113]
	v_add_f64 v[41:42], v[84:85], v[41:42]
	v_fma_f64 v[4:5], v[4:5], s[14:15], v[128:129]
	v_add_f64 v[19:20], v[39:40], v[49:50]
	v_add_f64 v[84:85], v[31:32], -v[37:38]
	v_add_f64 v[31:32], v[37:38], v[31:32]
	v_add_f64 v[37:38], v[49:50], -v[39:40]
	;; [unrolled: 2-line block ×4, first 2 shown]
	v_add_f64 v[17:18], v[230:231], v[170:171]
	v_add_f64 v[33:34], v[33:34], v[58:59]
	v_add_f64 v[45:46], v[51:52], -v[45:46]
	v_add_f64 v[51:52], v[70:71], -v[82:83]
	;; [unrolled: 1-line block ×3, first 2 shown]
	v_add_f64 v[6:7], v[6:7], v[9:10]
	v_add_f64 v[29:30], v[170:171], -v[230:231]
	ds_write2_b64 v1, v[25:26], v[196:197] offset1:1
	ds_write2_b64 v242, v[27:28], v[47:48] offset1:1
	v_add_nc_u32_e32 v10, 0x400, v0
	ds_write2_b64 v0, v[72:73], v[35:36] offset1:1
	ds_write2_b64 v0, v[64:65], v[80:81] offset0:2 offset1:3
	ds_write2_b64 v0, v[11:12], v[15:16] offset0:4 offset1:5
	;; [unrolled: 1-line block ×6, first 2 shown]
	v_add_f64 v[8:9], v[43:44], v[13:14]
	v_add_f64 v[25:26], v[94:95], v[21:22]
	v_add_f64 v[27:28], v[41:42], -v[4:5]
	v_add_f64 v[4:5], v[4:5], v[41:42]
	v_add_f64 v[21:22], v[21:22], -v[94:95]
	v_add_f64 v[233:234], v[13:14], -v[43:44]
	v_add_nc_u32_e32 v1, 0xb28, v0
	v_lshlrev_b32_e32 v11, 3, v232
	ds_write2_b64 v0, v[53:54], v[39:40] offset0:238 offset1:239
	ds_write2_b64 v0, v[49:50], v[96:97] offset0:240 offset1:241
	;; [unrolled: 1-line block ×4, first 2 shown]
	ds_write2_b64 v1, v[126:127], v[6:7] offset1:1
	v_add_nc_u32_e32 v6, 0xee8, v0
	v_add_nc_u32_e32 v7, 0xef8, v0
	;; [unrolled: 1-line block ×3, first 2 shown]
	ds_write_b64 v0, v[66:67] offset:3808
	ds_write2_b64 v6, v[8:9], v[25:26] offset1:1
	ds_write2_b64 v7, v[27:28], v[4:5] offset1:1
	;; [unrolled: 1-line block ×3, first 2 shown]
	v_add_nc_u32_e32 v4, v235, v11
	v_add3_u32 v255, 0, v11, v243
	buffer_store_dword v243, off, s[56:59], 0 offset:4 ; 4-byte Folded Spill
	s_waitcnt lgkmcnt(0)
	s_waitcnt_vscnt null, 0x0
	s_barrier
	buffer_gl0_inv
	buffer_store_dword v4, off, s[56:59], 0 ; 4-byte Folded Spill
	v_add_nc_u32_e32 v80, 0x800, v255
	v_add_nc_u32_e32 v81, 0xc00, v255
	v_add_nc_u32_e32 v236, 0x1000, v255
	ds_read_b64 v[251:252], v4
	ds_read_b64 v[230:231], v255 offset:4616
	ds_read2_b64 v[4:7], v255 offset0:17 offset1:35
	ds_read2_b64 v[194:197], v255 offset0:52 offset1:70
	;; [unrolled: 1-line block ×16, first 2 shown]
	v_add_nc_u32_e32 v239, 0x3b8, v0
	v_add_nc_u32_e32 v238, 0x770, v0
	;; [unrolled: 1-line block ×3, first 2 shown]
                                        ; implicit-def: $vgpr10_vgpr11
                                        ; implicit-def: $vgpr14_vgpr15
                                        ; implicit-def: $vgpr18_vgpr19
                                        ; implicit-def: $vgpr22_vgpr23
                                        ; implicit-def: $vgpr26_vgpr27
                                        ; implicit-def: $vgpr30_vgpr31
                                        ; implicit-def: $vgpr38_vgpr39
                                        ; implicit-def: $vgpr34_vgpr35
	s_and_saveexec_b32 s1, s0
	s_cbranch_execz .LBB0_12
; %bb.11:
	v_add_nc_u32_e32 v8, 0x400, v235
	v_add_nc_u32_e32 v9, 0x800, v235
	ds_read2_b64 v[32:35], v235 offset0:34 offset1:69
	v_add_nc_u32_e32 v10, 0x1000, v235
	ds_read2_b64 v[36:39], v235 offset0:104 offset1:139
	ds_read2_b64 v[28:31], v235 offset0:174 offset1:209
	ds_read2_b64 v[24:27], v8 offset0:116 offset1:151
	ds_read2_b64 v[20:23], v9 offset0:58 offset1:93
	ds_read2_b64 v[16:19], v9 offset0:128 offset1:163
	ds_read2_b64 v[12:15], v9 offset0:198 offset1:233
	ds_read2_b64 v[8:11], v10 offset0:12 offset1:47
	ds_read_b64 v[253:254], v235 offset:4752
	s_waitcnt lgkmcnt(8)
	v_mov_b32_e32 v234, v33
	v_mov_b32_e32 v233, v32
.LBB0_12:
	s_or_b32 exec_lo, exec_lo, s1
	v_add_f64 v[32:33], v[228:229], v[192:193]
	v_add_f64 v[168:169], v[224:225], v[168:169]
	v_add_f64 v[190:191], v[190:191], -v[226:227]
	v_add_f64 v[166:167], v[166:167], -v[222:223]
	v_add_f64 v[192:193], v[220:221], v[216:217]
	v_add_f64 v[214:215], v[218:219], -v[214:215]
	v_add_f64 v[152:153], v[212:213], v[152:153]
	v_add_f64 v[144:145], v[208:209], v[144:145]
	v_add_f64 v[98:99], v[106:107], -v[98:99]
	v_add_f64 v[106:107], v[176:177], v[120:121]
	v_add_f64 v[120:121], v[178:179], -v[162:163]
	v_add_f64 v[150:151], v[150:151], -v[210:211]
	v_add_f64 v[142:143], v[142:143], -v[206:207]
	v_add_f64 v[200:201], v[200:201], v[204:205]
	v_add_f64 v[198:199], v[198:199], -v[202:203]
	v_add_f64 v[100:101], v[100:101], v[108:109]
	v_add_f64 v[108:109], v[118:119], -v[174:175]
	v_add_f64 v[118:119], v[180:181], v[164:165]
	v_add_f64 v[132:133], v[160:161], v[132:133]
	;; [unrolled: 1-line block ×3, first 2 shown]
	v_add_f64 v[76:77], v[76:77], -v[154:155]
	v_add_f64 v[138:139], v[146:147], -v[138:139]
	v_add_f64 v[88:89], v[136:137], v[88:89]
	v_add_f64 v[162:163], v[168:169], v[32:33]
	;; [unrolled: 1-line block ×4, first 2 shown]
	v_add_f64 v[102:103], v[114:115], -v[102:103]
	v_add_f64 v[114:115], v[168:169], -v[32:33]
	;; [unrolled: 1-line block ×6, first 2 shown]
	v_add_f64 v[146:147], v[144:145], v[152:153]
	v_add_f64 v[130:131], v[130:131], -v[158:159]
	v_add_f64 v[140:141], v[148:149], v[140:141]
	v_add_f64 v[86:87], v[86:87], -v[134:135]
	v_add_f64 v[90:91], v[90:91], -v[122:123]
	v_add_f64 v[122:123], v[214:215], v[166:167]
	v_add_f64 v[134:135], v[190:191], -v[214:215]
	v_add_f64 v[148:149], v[144:145], -v[152:153]
	;; [unrolled: 1-line block ×4, first 2 shown]
	v_add_f64 v[156:157], v[198:199], v[142:143]
	v_add_f64 v[158:159], v[198:199], -v[142:143]
	v_add_f64 v[142:143], v[142:143], -v[150:151]
	v_add_f64 v[154:155], v[192:193], v[162:163]
	v_add_f64 v[162:163], v[106:107], v[100:101]
	v_add_f64 v[164:165], v[106:107], -v[100:101]
	v_add_f64 v[106:107], v[118:119], -v[106:107]
	v_add_f64 v[174:175], v[78:79], v[132:133]
	v_mul_f64 v[32:33], v[32:33], s[10:11]
	v_mul_f64 v[180:181], v[116:117], s[6:7]
	;; [unrolled: 1-line block ×4, first 2 shown]
	v_add_f64 v[146:147], v[200:201], v[146:147]
	v_add_f64 v[200:201], v[92:93], v[88:89]
	v_add_f64 v[160:161], v[150:151], -v[198:199]
	v_add_f64 v[100:101], v[100:101], -v[118:119]
	v_add_f64 v[166:167], v[120:121], v[108:109]
	v_add_f64 v[168:169], v[120:121], -v[108:109]
	v_add_f64 v[108:109], v[108:109], -v[98:99]
	;; [unrolled: 1-line block ×5, first 2 shown]
	v_add_f64 v[192:193], v[138:139], v[76:77]
	v_add_f64 v[198:199], v[138:139], -v[76:77]
	v_add_f64 v[76:77], v[76:77], -v[130:131]
	v_add_f64 v[74:75], v[74:75], v[154:155]
	v_add_f64 v[202:203], v[92:93], -v[88:89]
	v_add_f64 v[88:89], v[88:89], -v[104:105]
	;; [unrolled: 1-line block ×4, first 2 shown]
	v_add_f64 v[122:123], v[122:123], v[190:191]
	v_mul_f64 v[152:153], v[152:153], s[10:11]
	v_mul_f64 v[190:191], v[144:145], s[6:7]
	v_add_f64 v[118:119], v[118:119], v[162:163]
	v_fma_f64 v[116:117], v[116:117], s[6:7], v[32:33]
	v_fma_f64 v[162:163], v[134:135], s[24:25], v[124:125]
	v_fma_f64 v[124:125], v[136:137], s[4:5], -v[124:125]
	v_add_f64 v[62:63], v[62:63], v[146:147]
	v_fma_f64 v[134:135], v[134:135], s[16:17], -v[178:179]
	v_fma_f64 v[32:33], v[114:115], s[22:23], -v[32:33]
	;; [unrolled: 1-line block ×3, first 2 shown]
	v_add_f64 v[150:151], v[156:157], v[150:151]
	v_mul_f64 v[156:157], v[142:143], s[4:5]
	v_add_f64 v[140:141], v[140:141], v[174:175]
	v_add_f64 v[104:105], v[104:105], v[200:201]
	;; [unrolled: 1-line block ×3, first 2 shown]
	v_add_f64 v[90:91], v[90:91], -v[86:87]
	v_fma_f64 v[136:137], v[154:155], s[18:19], v[74:75]
	v_mul_f64 v[154:155], v[158:159], s[12:13]
	v_mul_f64 v[158:159], v[106:107], s[6:7]
	v_add_f64 v[120:121], v[98:99], -v[120:121]
	v_add_f64 v[138:139], v[130:131], -v[138:139]
	;; [unrolled: 1-line block ×3, first 2 shown]
	v_add_f64 v[98:99], v[166:167], v[98:99]
	v_mul_f64 v[100:101], v[100:101], s[10:11]
	v_mul_f64 v[166:167], v[168:169], s[12:13]
	;; [unrolled: 1-line block ×3, first 2 shown]
	v_fma_f64 v[144:145], v[144:145], s[6:7], v[152:153]
	v_fma_f64 v[174:175], v[148:149], s[20:21], -v[190:191]
	v_add_f64 v[56:57], v[56:57], v[118:119]
	v_fma_f64 v[162:163], v[122:123], s[14:15], v[162:163]
	v_fma_f64 v[124:125], v[122:123], s[14:15], v[124:125]
	;; [unrolled: 1-line block ×4, first 2 shown]
	v_mul_f64 v[132:133], v[132:133], s[10:11]
	v_mul_f64 v[134:135], v[78:79], s[6:7]
	;; [unrolled: 1-line block ×5, first 2 shown]
	v_add_f64 v[116:117], v[116:117], v[136:137]
	v_add_f64 v[32:33], v[32:33], v[136:137]
	;; [unrolled: 1-line block ×3, first 2 shown]
	v_mul_f64 v[136:137], v[198:199], s[12:13]
	v_mul_f64 v[190:191], v[206:207], s[12:13]
	v_add_f64 v[2:3], v[2:3], v[140:141]
	v_fma_f64 v[148:149], v[148:149], s[22:23], -v[152:153]
	v_fma_f64 v[152:153], v[160:161], s[24:25], v[154:155]
	v_fma_f64 v[142:143], v[142:143], s[4:5], -v[154:155]
	v_fma_f64 v[154:155], v[160:161], s[16:17], -v[156:157]
	;; [unrolled: 1-line block ×3, first 2 shown]
	v_add_f64 v[158:159], v[68:69], v[104:105]
	v_mul_f64 v[198:199], v[90:91], s[4:5]
	v_fma_f64 v[106:107], v[106:107], s[6:7], v[100:101]
	v_fma_f64 v[68:69], v[118:119], s[18:19], v[56:57]
	v_add_f64 v[118:119], v[144:145], v[146:147]
	v_add_f64 v[144:145], v[174:175], v[146:147]
	v_fma_f64 v[100:101], v[164:165], s[22:23], -v[100:101]
	v_fma_f64 v[108:109], v[108:109], s[4:5], -v[166:167]
	v_fma_f64 v[78:79], v[78:79], s[6:7], v[132:133]
	v_fma_f64 v[134:135], v[176:177], s[20:21], -v[134:135]
	v_fma_f64 v[132:133], v[176:177], s[22:23], -v[132:133]
	v_add_f64 v[86:87], v[204:205], v[86:87]
	v_add_f64 v[174:175], v[32:33], -v[122:123]
	v_add_f64 v[200:201], v[124:125], v[114:115]
	v_add_f64 v[114:115], v[114:115], -v[124:125]
	v_add_f64 v[32:33], v[122:123], v[32:33]
	v_fma_f64 v[122:123], v[120:121], s[24:25], v[166:167]
	v_fma_f64 v[120:121], v[120:121], s[16:17], -v[168:169]
	v_add_f64 v[124:125], v[192:193], v[130:131]
	v_fma_f64 v[130:131], v[140:141], s[18:19], v[2:3]
	v_fma_f64 v[140:141], v[138:139], s[24:25], v[136:137]
	v_fma_f64 v[76:77], v[76:77], s[4:5], -v[136:137]
	v_fma_f64 v[136:137], v[138:139], s[16:17], -v[178:179]
	v_fma_f64 v[104:105], v[104:105], s[18:19], v[158:159]
	v_fma_f64 v[92:93], v[92:93], s[6:7], v[88:89]
	v_fma_f64 v[138:139], v[202:203], s[20:21], -v[180:181]
	v_fma_f64 v[88:89], v[202:203], s[22:23], -v[88:89]
	v_fma_f64 v[164:165], v[102:103], s[24:25], v[190:191]
	v_fma_f64 v[102:103], v[102:103], s[16:17], -v[198:199]
	v_fma_f64 v[90:91], v[90:91], s[4:5], -v[190:191]
	v_add_f64 v[146:147], v[148:149], v[146:147]
	v_fma_f64 v[148:149], v[150:151], s[14:15], v[152:153]
	v_fma_f64 v[152:153], v[150:151], s[14:15], v[154:155]
	;; [unrolled: 1-line block ×3, first 2 shown]
	v_add_f64 v[106:107], v[106:107], v[68:69]
	v_add_f64 v[150:151], v[156:157], v[68:69]
	;; [unrolled: 1-line block ×3, first 2 shown]
	v_add_f64 v[160:161], v[116:117], -v[162:163]
	v_fma_f64 v[100:101], v[98:99], s[14:15], v[122:123]
	v_fma_f64 v[120:121], v[98:99], s[14:15], v[120:121]
	v_fma_f64 v[98:99], v[98:99], s[14:15], v[108:109]
	v_add_f64 v[78:79], v[78:79], v[130:131]
	v_add_f64 v[108:109], v[134:135], v[130:131]
	;; [unrolled: 1-line block ×3, first 2 shown]
	v_fma_f64 v[130:131], v[124:125], s[14:15], v[140:141]
	v_fma_f64 v[132:133], v[124:125], s[14:15], v[136:137]
	;; [unrolled: 1-line block ×3, first 2 shown]
	v_add_f64 v[92:93], v[92:93], v[104:105]
	v_add_f64 v[124:125], v[138:139], v[104:105]
	;; [unrolled: 1-line block ×3, first 2 shown]
	v_fma_f64 v[104:105], v[86:87], s[14:15], v[164:165]
	v_fma_f64 v[102:103], v[86:87], s[14:15], v[102:103]
	;; [unrolled: 1-line block ×3, first 2 shown]
	v_add_f64 v[90:91], v[162:163], v[116:117]
	v_add_f64 v[116:117], v[118:119], -v[148:149]
	v_add_f64 v[136:137], v[142:143], v[144:145]
	v_add_f64 v[138:139], v[144:145], -v[142:143]
	v_add_f64 v[134:135], v[146:147], -v[152:153]
	v_add_f64 v[140:141], v[152:153], v[146:147]
	v_add_f64 v[118:119], v[148:149], v[118:119]
	v_add_f64 v[142:143], v[106:107], -v[100:101]
	v_add_f64 v[144:145], v[68:69], -v[120:121]
	v_add_f64 v[120:121], v[120:121], v[68:69]
	v_add_f64 v[146:147], v[98:99], v[150:151]
	v_add_f64 v[98:99], v[150:151], -v[98:99]
	v_add_f64 v[100:101], v[100:101], v[106:107]
	v_add_f64 v[106:107], v[78:79], -v[130:131]
	v_add_f64 v[148:149], v[122:123], -v[132:133]
	v_add_f64 v[150:151], v[76:77], v[108:109]
	v_add_f64 v[76:77], v[108:109], -v[76:77]
	v_add_f64 v[108:109], v[132:133], v[122:123]
	v_add_f64 v[78:79], v[130:131], v[78:79]
	;; [unrolled: 1-line block ×3, first 2 shown]
	v_add_f64 v[122:123], v[92:93], -v[104:105]
	v_add_f64 v[130:131], v[88:89], -v[102:103]
	v_add_f64 v[132:133], v[86:87], v[124:125]
	v_add_f64 v[86:87], v[124:125], -v[86:87]
	s_waitcnt lgkmcnt(0)
	s_waitcnt_vscnt null, 0x0
	s_barrier
	buffer_gl0_inv
	ds_write2_b64 v0, v[74:75], v[160:161] offset1:1
	ds_write2_b64 v0, v[174:175], v[200:201] offset0:2 offset1:3
	ds_write2_b64 v0, v[114:115], v[32:33] offset0:4 offset1:5
	ds_write_b64 v0, v[90:91] offset:48
	ds_write2_b64 v239, v[62:63], v[116:117] offset1:1
	ds_write2_b64 v239, v[134:135], v[136:137] offset0:2 offset1:3
	ds_write2_b64 v239, v[138:139], v[140:141] offset0:4 offset1:5
	ds_write_b64 v239, v[118:119] offset:48
	ds_write2_b64 v238, v[56:57], v[142:143] offset1:1
	ds_write2_b64 v238, v[144:145], v[146:147] offset0:2 offset1:3
	ds_write2_b64 v238, v[98:99], v[120:121] offset0:4 offset1:5
	ds_write_b64 v238, v[100:101] offset:48
	ds_write2_b64 v1, v[2:3], v[106:107] offset1:1
	ds_write2_b64 v1, v[148:149], v[150:151] offset0:2 offset1:3
	ds_write2_b64 v1, v[76:77], v[108:109] offset0:4 offset1:5
	ds_write_b64 v1, v[78:79] offset:48
	ds_write_b64 v237, v[158:159]
	ds_write2_b64 v237, v[122:123], v[130:131] offset0:1 offset1:2
	ds_write2_b64 v237, v[132:133], v[86:87] offset0:3 offset1:4
	buffer_store_dword v68, off, s[56:59], 0 offset:416 ; 4-byte Folded Spill
	buffer_store_dword v69, off, s[56:59], 0 offset:420 ; 4-byte Folded Spill
	v_add_f64 v[88:89], v[102:103], v[88:89]
                                        ; implicit-def: $vgpr76_vgpr77
                                        ; implicit-def: $vgpr92_vgpr93
                                        ; implicit-def: $vgpr100_vgpr101
                                        ; implicit-def: $vgpr104_vgpr105
                                        ; implicit-def: $vgpr116_vgpr117
                                        ; implicit-def: $vgpr108_vgpr109
	ds_write2_b64 v237, v[88:89], v[68:69] offset0:5 offset1:6
	s_waitcnt lgkmcnt(0)
	s_waitcnt_vscnt null, 0x0
	s_barrier
	buffer_gl0_inv
	ds_read2_b64 v[0:3], v255 offset0:17 offset1:35
	ds_read2_b64 v[190:193], v255 offset0:52 offset1:70
	;; [unrolled: 1-line block ×16, first 2 shown]
	buffer_load_dword v32, off, s[56:59], 0 ; 4-byte Folded Reload
                                        ; implicit-def: $vgpr80_vgpr81
                                        ; implicit-def: $vgpr88_vgpr89
	s_waitcnt vmcnt(0)
	ds_read_b64 v[198:199], v32
	ds_read_b64 v[56:57], v255 offset:4616
                                        ; implicit-def: $vgpr32_vgpr33
	s_and_saveexec_b32 s1, s0
	s_cbranch_execz .LBB0_14
; %bb.13:
	v_add_nc_u32_e32 v32, 0x400, v235
	v_add_nc_u32_e32 v33, 0x800, v235
	ds_read2_b64 v[106:109], v235 offset0:34 offset1:69
	v_add_nc_u32_e32 v62, 0x1000, v235
	ds_read2_b64 v[114:117], v235 offset0:104 offset1:139
	ds_read2_b64 v[102:105], v235 offset0:174 offset1:209
	;; [unrolled: 1-line block ×7, first 2 shown]
	ds_read_b64 v[32:33], v235 offset:4752
	s_waitcnt lgkmcnt(8)
	v_mov_b32_e32 v62, v106
	v_mov_b32_e32 v63, v107
	buffer_store_dword v62, off, s[56:59], 0 offset:416 ; 4-byte Folded Spill
	buffer_store_dword v63, off, s[56:59], 0 offset:420 ; 4-byte Folded Spill
.LBB0_14:
	s_or_b32 exec_lo, exec_lo, s1
	v_and_b32_e32 v62, 0xff, v232
	v_add_nc_u32_e32 v221, 17, v232
	v_add_nc_u32_e32 v220, 34, v232
	s_mov_b32 s4, 0x5d8e7cdc
	s_mov_b32 s10, 0x2a9d6da3
	v_mul_lo_u16 v62, v62, 37
	s_mov_b32 s12, 0x7c9e640b
	s_mov_b32 s18, 0xeb564b22
	;; [unrolled: 1-line block ×4, first 2 shown]
	v_lshrrev_b16 v62, 8, v62
	s_mov_b32 s26, 0x4363dd80
	s_mov_b32 s30, 0xacd6c6b4
	;; [unrolled: 1-line block ×4, first 2 shown]
	v_sub_nc_u16 v63, v232, v62
	s_mov_b32 s13, 0xbfeca52d
	s_mov_b32 s19, 0xbfefdd0d
	;; [unrolled: 1-line block ×4, first 2 shown]
	v_lshrrev_b16 v63, 1, v63
	s_mov_b32 s27, 0xbfe0d888
	s_mov_b32 s31, 0xbfc7851a
	;; [unrolled: 1-line block ×4, first 2 shown]
	v_and_b32_e32 v63, 0x7f, v63
	s_mov_b32 s16, 0x2b2883cd
	s_mov_b32 s24, 0x3259b75e
	;; [unrolled: 1-line block ×4, first 2 shown]
	v_add_nc_u16 v62, v63, v62
	s_mov_b32 s36, 0x910ea3b9
	s_mov_b32 s38, 0x7faef3
	;; [unrolled: 1-line block ×4, first 2 shown]
	v_lshrrev_b16 v62, 2, v62
	s_mov_b32 s17, 0x3fdc86fa
	s_mov_b32 s25, 0x3fb79ee6
	;; [unrolled: 1-line block ×4, first 2 shown]
	buffer_store_dword v62, off, s[56:59], 0 offset:432 ; 4-byte Folded Spill
	v_mul_lo_u16 v62, v62, 7
	s_mov_b32 s37, 0xbfeb34fa
	s_mov_b32 s39, 0xbfef7484
	;; [unrolled: 1-line block ×4, first 2 shown]
	v_sub_nc_u16 v224, v232, v62
	v_mov_b32_e32 v62, 8
	s_mov_b32 s41, 0x3feec746
	s_mov_b32 s40, s20
	;; [unrolled: 1-line block ×4, first 2 shown]
	v_lshlrev_b32_sdwa v63, v62, v224 dst_sel:DWORD dst_unused:UNUSED_PAD src0_sel:DWORD src1_sel:BYTE_0
	s_mov_b32 s47, 0x3fd71e95
	s_mov_b32 s46, s4
	s_clause 0x3
	global_load_dwordx4 v[200:203], v63, s[8:9] offset:48
	global_load_dwordx4 v[204:207], v63, s[8:9] offset:32
	global_load_dwordx4 v[208:211], v63, s[8:9] offset:16
	global_load_dwordx4 v[212:215], v63, s[8:9]
	s_mov_b32 s49, 0x3fc7851a
	s_mov_b32 s48, s30
	;; [unrolled: 1-line block ×8, first 2 shown]
	s_waitcnt vmcnt(0) lgkmcnt(17)
	v_mul_f64 v[216:217], v[2:3], v[214:215]
	v_fma_f64 v[237:238], v[6:7], v[212:213], v[216:217]
	v_mul_f64 v[6:7], v[6:7], v[214:215]
	v_fma_f64 v[222:223], v[2:3], v[212:213], -v[6:7]
	s_waitcnt lgkmcnt(16)
	v_mul_f64 v[2:3], v[192:193], v[210:211]
	v_fma_f64 v[241:242], v[196:197], v[208:209], v[2:3]
	v_mul_f64 v[2:3], v[196:197], v[210:211]
	v_fma_f64 v[239:240], v[192:193], v[208:209], -v[2:3]
	s_waitcnt lgkmcnt(15)
	;; [unrolled: 5-line block ×3, first 2 shown]
	v_mul_f64 v[2:3], v[176:177], v[202:203]
	v_fma_f64 v[106:107], v[184:185], v[200:201], v[2:3]
	v_mul_f64 v[2:3], v[184:185], v[202:203]
	v_fma_f64 v[228:229], v[176:177], v[200:201], -v[2:3]
	s_clause 0x3
	global_load_dwordx4 v[200:203], v63, s[8:9] offset:112
	global_load_dwordx4 v[204:207], v63, s[8:9] offset:96
	;; [unrolled: 1-line block ×4, first 2 shown]
	s_waitcnt vmcnt(0) lgkmcnt(13)
	v_mul_f64 v[2:3], v[168:169], v[210:211]
	v_fma_f64 v[176:177], v[172:173], v[208:209], v[2:3]
	v_mul_f64 v[2:3], v[172:173], v[210:211]
	v_fma_f64 v[2:3], v[168:169], v[208:209], -v[2:3]
	buffer_store_dword v2, off, s[56:59], 0 offset:436 ; 4-byte Folded Spill
	buffer_store_dword v3, off, s[56:59], 0 offset:440 ; 4-byte Folded Spill
	s_waitcnt lgkmcnt(12)
	v_mul_f64 v[2:3], v[164:165], v[216:217]
	v_fma_f64 v[180:181], v[128:129], v[214:215], v[2:3]
	v_mul_f64 v[2:3], v[128:129], v[216:217]
	v_fma_f64 v[164:165], v[164:165], v[214:215], -v[2:3]
	s_waitcnt lgkmcnt(11)
	v_mul_f64 v[2:3], v[160:161], v[206:207]
	v_fma_f64 v[192:193], v[112:113], v[204:205], v[2:3]
	v_mul_f64 v[2:3], v[112:113], v[206:207]
	v_fma_f64 v[2:3], v[160:161], v[204:205], -v[2:3]
	buffer_store_dword v2, off, s[56:59], 0 offset:444 ; 4-byte Folded Spill
	buffer_store_dword v3, off, s[56:59], 0 offset:448 ; 4-byte Folded Spill
	s_clause 0x3
	global_load_dwordx4 v[243:246], v63, s[8:9] offset:176
	global_load_dwordx4 v[247:250], v63, s[8:9] offset:160
	;; [unrolled: 1-line block ×4, first 2 shown]
	s_waitcnt lgkmcnt(10)
	v_mul_f64 v[2:3], v[156:157], v[202:203]
	v_fma_f64 v[128:129], v[96:97], v[200:201], v[2:3]
	v_mul_f64 v[2:3], v[96:97], v[202:203]
	v_fma_f64 v[196:197], v[156:157], v[200:201], -v[2:3]
	s_waitcnt vmcnt(0) lgkmcnt(9)
	v_mul_f64 v[2:3], v[152:153], v[206:207]
	v_mul_f64 v[6:7], v[84:85], v[206:207]
	v_fma_f64 v[2:3], v[84:85], v[204:205], v[2:3]
	s_waitcnt lgkmcnt(8)
	v_mul_f64 v[84:85], v[148:149], v[218:219]
	v_fma_f64 v[225:226], v[152:153], v[204:205], -v[6:7]
	v_fma_f64 v[152:153], v[72:73], v[216:217], v[84:85]
	v_mul_f64 v[72:73], v[72:73], v[218:219]
	v_fma_f64 v[148:149], v[148:149], v[216:217], -v[72:73]
	s_waitcnt lgkmcnt(7)
	v_mul_f64 v[72:73], v[144:145], v[249:250]
	v_fma_f64 v[216:217], v[66:67], v[247:248], v[72:73]
	v_mul_f64 v[66:67], v[66:67], v[249:250]
	v_fma_f64 v[168:169], v[144:145], v[247:248], -v[66:67]
	s_clause 0x3
	global_load_dwordx4 v[200:203], v63, s[8:9] offset:240
	global_load_dwordx4 v[204:207], v63, s[8:9] offset:224
	;; [unrolled: 1-line block ×4, first 2 shown]
	s_waitcnt lgkmcnt(6)
	v_mul_f64 v[66:67], v[140:141], v[245:246]
	v_fma_f64 v[218:219], v[60:61], v[243:244], v[66:67]
	v_mul_f64 v[60:61], v[60:61], v[245:246]
	v_fma_f64 v[6:7], v[140:141], v[243:244], -v[60:61]
	s_waitcnt vmcnt(0) lgkmcnt(5)
	v_mul_f64 v[60:61], v[136:137], v[210:211]
	v_fma_f64 v[243:244], v[54:55], v[208:209], v[60:61]
	s_waitcnt lgkmcnt(4)
	v_mul_f64 v[60:61], v[132:133], v[249:250]
	v_mul_f64 v[54:55], v[54:55], v[210:211]
	v_fma_f64 v[245:246], v[50:51], v[247:248], v[60:61]
	v_mul_f64 v[50:51], v[50:51], v[249:250]
	s_waitcnt lgkmcnt(3)
	v_mul_f64 v[60:61], v[124:125], v[206:207]
	v_fma_f64 v[188:189], v[136:137], v[208:209], -v[54:55]
	v_fma_f64 v[184:185], v[132:133], v[247:248], -v[50:51]
	v_fma_f64 v[247:248], v[46:47], v[204:205], v[60:61]
	s_waitcnt lgkmcnt(2)
	v_mul_f64 v[60:61], v[120:121], v[202:203]
	v_mul_f64 v[46:47], v[46:47], v[206:207]
	v_fma_f64 v[249:250], v[42:43], v[200:201], v[60:61]
	v_and_b32_e32 v60, 0xff, v221
	v_mul_f64 v[42:43], v[42:43], v[202:203]
	v_fma_f64 v[140:141], v[124:125], v[204:205], -v[46:47]
	v_mul_lo_u16 v60, v60, 37
	v_lshrrev_b16 v60, 8, v60
	v_sub_nc_u16 v61, v221, v60
	v_lshrrev_b16 v61, 1, v61
	v_fma_f64 v[54:55], v[120:121], v[200:201], -v[42:43]
	v_and_b32_e32 v61, 0x7f, v61
	v_add_nc_u16 v60, v61, v60
	v_lshrrev_b16 v120, 2, v60
	v_mul_lo_u16 v60, v120, 7
	v_sub_nc_u16 v121, v221, v60
	v_lshlrev_b32_sdwa v112, v62, v121 dst_sel:DWORD dst_unused:UNUSED_PAD src0_sel:DWORD src1_sel:BYTE_0
	s_clause 0x3
	global_load_dwordx4 v[200:203], v112, s[8:9] offset:48
	global_load_dwordx4 v[204:207], v112, s[8:9] offset:32
	;; [unrolled: 1-line block ×3, first 2 shown]
	global_load_dwordx4 v[212:215], v112, s[8:9]
	s_waitcnt vmcnt(0)
	v_mul_f64 v[60:61], v[190:191], v[214:215]
	v_fma_f64 v[50:51], v[194:195], v[212:213], v[60:61]
	v_mul_f64 v[60:61], v[194:195], v[214:215]
	v_fma_f64 v[190:191], v[190:191], v[212:213], -v[60:61]
	v_mul_f64 v[60:61], v[178:179], v[210:211]
	v_fma_f64 v[42:43], v[186:187], v[208:209], v[60:61]
	v_mul_f64 v[60:61], v[186:187], v[210:211]
	v_fma_f64 v[46:47], v[178:179], v[208:209], -v[60:61]
	v_mul_f64 v[60:61], v[174:175], v[206:207]
	v_fma_f64 v[214:215], v[182:183], v[204:205], v[60:61]
	v_mul_f64 v[60:61], v[182:183], v[206:207]
	v_fma_f64 v[156:157], v[174:175], v[204:205], -v[60:61]
	v_mul_f64 v[60:61], v[166:167], v[202:203]
	v_fma_f64 v[204:205], v[170:171], v[200:201], v[60:61]
	v_mul_f64 v[60:61], v[170:171], v[202:203]
	v_fma_f64 v[144:145], v[166:167], v[200:201], -v[60:61]
	s_clause 0x3
	global_load_dwordx4 v[206:209], v112, s[8:9] offset:112
	global_load_dwordx4 v[200:203], v112, s[8:9] offset:96
	;; [unrolled: 1-line block ×4, first 2 shown]
	s_waitcnt vmcnt(0)
	v_mul_f64 v[66:67], v[126:127], v[172:173]
	v_mul_f64 v[60:61], v[162:163], v[172:173]
	v_fma_f64 v[132:133], v[162:163], v[170:171], -v[66:67]
	v_mul_f64 v[66:67], v[158:159], v[212:213]
	v_fma_f64 v[124:125], v[126:127], v[170:171], v[60:61]
	v_fma_f64 v[136:137], v[110:111], v[210:211], v[66:67]
	v_mul_f64 v[66:67], v[110:111], v[212:213]
	v_fma_f64 v[212:213], v[158:159], v[210:211], -v[66:67]
	v_mul_f64 v[66:67], v[154:155], v[202:203]
	v_fma_f64 v[210:211], v[94:95], v[200:201], v[66:67]
	v_mul_f64 v[66:67], v[94:95], v[202:203]
	v_fma_f64 v[200:201], v[154:155], v[200:201], -v[66:67]
	v_mul_f64 v[66:67], v[150:151], v[208:209]
	v_fma_f64 v[60:61], v[82:83], v[206:207], v[66:67]
	v_mul_f64 v[66:67], v[82:83], v[208:209]
	s_clause 0x3
	global_load_dwordx4 v[82:85], v112, s[8:9] offset:176
	global_load_dwordx4 v[94:97], v112, s[8:9] offset:160
	;; [unrolled: 1-line block ×4, first 2 shown]
	v_fma_f64 v[110:111], v[150:151], v[206:207], -v[66:67]
	s_waitcnt vmcnt(0)
	v_mul_f64 v[66:67], v[146:147], v[172:173]
	v_fma_f64 v[66:67], v[70:71], v[170:171], v[66:67]
	v_mul_f64 v[70:71], v[70:71], v[172:173]
	v_fma_f64 v[202:203], v[146:147], v[170:171], -v[70:71]
	v_mul_f64 v[70:71], v[142:143], v[160:161]
	v_fma_f64 v[206:207], v[64:65], v[158:159], v[70:71]
	v_mul_f64 v[63:64], v[64:65], v[160:161]
	v_mul_f64 v[70:71], v[138:139], v[96:97]
	v_fma_f64 v[64:65], v[142:143], v[158:159], -v[63:64]
	v_fma_f64 v[142:143], v[58:59], v[94:95], v[70:71]
	v_mul_f64 v[58:59], v[58:59], v[96:97]
	v_mul_f64 v[70:71], v[134:135], v[84:85]
	v_fma_f64 v[58:59], v[138:139], v[94:95], -v[58:59]
	v_fma_f64 v[138:139], v[52:53], v[82:83], v[70:71]
	v_mul_f64 v[52:53], v[52:53], v[84:85]
	v_fma_f64 v[52:53], v[134:135], v[82:83], -v[52:53]
	s_clause 0x3
	global_load_dwordx4 v[70:73], v112, s[8:9] offset:240
	global_load_dwordx4 v[82:85], v112, s[8:9] offset:224
	;; [unrolled: 1-line block ×4, first 2 shown]
	s_waitcnt vmcnt(0)
	v_mul_f64 v[112:113], v[130:131], v[160:161]
	v_fma_f64 v[134:135], v[48:49], v[158:159], v[112:113]
	v_mul_f64 v[112:113], v[122:123], v[96:97]
	v_mul_f64 v[48:49], v[48:49], v[160:161]
	v_fma_f64 v[150:151], v[44:45], v[94:95], v[112:113]
	v_mul_f64 v[44:45], v[44:45], v[96:97]
	v_fma_f64 v[48:49], v[130:131], v[158:159], -v[48:49]
	v_fma_f64 v[44:45], v[122:123], v[94:95], -v[44:45]
	v_mul_f64 v[94:95], v[118:119], v[84:85]
	v_fma_f64 v[154:155], v[40:41], v[82:83], v[94:95]
	v_mul_f64 v[40:41], v[40:41], v[84:85]
	v_fma_f64 v[158:159], v[118:119], v[82:83], -v[40:41]
	s_waitcnt lgkmcnt(0)
	v_mul_f64 v[40:41], v[56:57], v[72:73]
	v_fma_f64 v[160:161], v[230:231], v[70:71], v[40:41]
	v_mul_f64 v[40:41], v[230:231], v[72:73]
	v_fma_f64 v[40:41], v[56:57], v[70:71], -v[40:41]
	v_and_b32_e32 v56, 0xff, v220
	v_mul_lo_u16 v56, v56, 37
	v_lshrrev_b16 v56, 8, v56
	v_sub_nc_u16 v57, v220, v56
	v_lshrrev_b16 v57, 1, v57
	v_and_b32_e32 v57, 0x7f, v57
	v_add_nc_u16 v56, v57, v56
	v_lshrrev_b16 v56, 2, v56
	v_mul_lo_u16 v56, v56, 7
	v_sub_nc_u16 v112, v220, v56
	v_lshlrev_b32_sdwa v62, v62, v112 dst_sel:DWORD dst_unused:UNUSED_PAD src0_sel:DWORD src1_sel:BYTE_0
	s_clause 0x3
	global_load_dwordx4 v[70:73], v62, s[8:9] offset:48
	global_load_dwordx4 v[82:85], v62, s[8:9] offset:32
	;; [unrolled: 1-line block ×3, first 2 shown]
	global_load_dwordx4 v[170:173], v62, s[8:9]
	s_waitcnt vmcnt(0)
	v_mul_f64 v[56:57], v[108:109], v[172:173]
	v_fma_f64 v[56:57], v[34:35], v[170:171], v[56:57]
	v_mul_f64 v[34:35], v[34:35], v[172:173]
	buffer_store_dword v56, off, s[56:59], 0 offset:256 ; 4-byte Folded Spill
	buffer_store_dword v57, off, s[56:59], 0 offset:260 ; 4-byte Folded Spill
	v_fma_f64 v[34:35], v[108:109], v[170:171], -v[34:35]
	buffer_store_dword v34, off, s[56:59], 0 offset:96 ; 4-byte Folded Spill
	buffer_store_dword v35, off, s[56:59], 0 offset:100 ; 4-byte Folded Spill
	v_mul_f64 v[34:35], v[114:115], v[96:97]
	v_fma_f64 v[34:35], v[36:37], v[94:95], v[34:35]
	buffer_store_dword v34, off, s[56:59], 0 offset:144 ; 4-byte Folded Spill
	buffer_store_dword v35, off, s[56:59], 0 offset:148 ; 4-byte Folded Spill
	v_mul_f64 v[34:35], v[36:37], v[96:97]
	v_fma_f64 v[34:35], v[114:115], v[94:95], -v[34:35]
	buffer_store_dword v34, off, s[56:59], 0 offset:104 ; 4-byte Folded Spill
	buffer_store_dword v35, off, s[56:59], 0 offset:108 ; 4-byte Folded Spill
	v_mul_f64 v[34:35], v[116:117], v[84:85]
	v_fma_f64 v[34:35], v[38:39], v[82:83], v[34:35]
	buffer_store_dword v34, off, s[56:59], 0 offset:160 ; 4-byte Folded Spill
	buffer_store_dword v35, off, s[56:59], 0 offset:164 ; 4-byte Folded Spill
	v_mul_f64 v[34:35], v[38:39], v[84:85]
	v_fma_f64 v[34:35], v[116:117], v[82:83], -v[34:35]
	buffer_store_dword v34, off, s[56:59], 0 offset:64 ; 4-byte Folded Spill
	buffer_store_dword v35, off, s[56:59], 0 offset:68 ; 4-byte Folded Spill
	v_mul_f64 v[34:35], v[102:103], v[72:73]
	v_fma_f64 v[34:35], v[28:29], v[70:71], v[34:35]
	v_mul_f64 v[28:29], v[28:29], v[72:73]
	buffer_store_dword v34, off, s[56:59], 0 offset:168 ; 4-byte Folded Spill
	buffer_store_dword v35, off, s[56:59], 0 offset:172 ; 4-byte Folded Spill
	v_fma_f64 v[28:29], v[102:103], v[70:71], -v[28:29]
	buffer_store_dword v28, off, s[56:59], 0 offset:56 ; 4-byte Folded Spill
	buffer_store_dword v29, off, s[56:59], 0 offset:60 ; 4-byte Folded Spill
	s_clause 0x3
	global_load_dwordx4 v[34:37], v62, s[8:9] offset:112
	global_load_dwordx4 v[70:73], v62, s[8:9] offset:96
	global_load_dwordx4 v[82:85], v62, s[8:9] offset:80
	global_load_dwordx4 v[94:97], v62, s[8:9] offset:64
	s_waitcnt vmcnt(0)
	v_mul_f64 v[28:29], v[104:105], v[96:97]
	v_fma_f64 v[28:29], v[30:31], v[94:95], v[28:29]
	buffer_store_dword v28, off, s[56:59], 0 offset:184 ; 4-byte Folded Spill
	buffer_store_dword v29, off, s[56:59], 0 offset:188 ; 4-byte Folded Spill
	v_mul_f64 v[28:29], v[30:31], v[96:97]
	v_fma_f64 v[28:29], v[104:105], v[94:95], -v[28:29]
	buffer_store_dword v28, off, s[56:59], 0 offset:72 ; 4-byte Folded Spill
	buffer_store_dword v29, off, s[56:59], 0 offset:76 ; 4-byte Folded Spill
	v_mul_f64 v[28:29], v[98:99], v[84:85]
	v_fma_f64 v[28:29], v[24:25], v[82:83], v[28:29]
	v_mul_f64 v[24:25], v[24:25], v[84:85]
	buffer_store_dword v28, off, s[56:59], 0 offset:192 ; 4-byte Folded Spill
	buffer_store_dword v29, off, s[56:59], 0 offset:196 ; 4-byte Folded Spill
	v_fma_f64 v[24:25], v[98:99], v[82:83], -v[24:25]
	buffer_store_dword v24, off, s[56:59], 0 offset:88 ; 4-byte Folded Spill
	buffer_store_dword v25, off, s[56:59], 0 offset:92 ; 4-byte Folded Spill
	v_mul_f64 v[24:25], v[100:101], v[72:73]
	v_fma_f64 v[24:25], v[26:27], v[70:71], v[24:25]
	buffer_store_dword v24, off, s[56:59], 0 offset:200 ; 4-byte Folded Spill
	buffer_store_dword v25, off, s[56:59], 0 offset:204 ; 4-byte Folded Spill
	v_mul_f64 v[24:25], v[26:27], v[72:73]
	v_fma_f64 v[24:25], v[100:101], v[70:71], -v[24:25]
	buffer_store_dword v24, off, s[56:59], 0 offset:128 ; 4-byte Folded Spill
	buffer_store_dword v25, off, s[56:59], 0 offset:132 ; 4-byte Folded Spill
	v_mul_f64 v[24:25], v[90:91], v[36:37]
	v_fma_f64 v[24:25], v[20:21], v[34:35], v[24:25]
	v_mul_f64 v[20:21], v[20:21], v[36:37]
	buffer_store_dword v24, off, s[56:59], 0 offset:16 ; 4-byte Folded Spill
	buffer_store_dword v25, off, s[56:59], 0 offset:20 ; 4-byte Folded Spill
	v_fma_f64 v[20:21], v[90:91], v[34:35], -v[20:21]
	buffer_store_dword v20, off, s[56:59], 0 offset:24 ; 4-byte Folded Spill
	buffer_store_dword v21, off, s[56:59], 0 offset:28 ; 4-byte Folded Spill
	s_clause 0x3
	global_load_dwordx4 v[24:27], v62, s[8:9] offset:176
	global_load_dwordx4 v[28:31], v62, s[8:9] offset:160
	global_load_dwordx4 v[34:37], v62, s[8:9] offset:144
	global_load_dwordx4 v[70:73], v62, s[8:9] offset:128
	s_waitcnt vmcnt(0)
	v_mul_f64 v[20:21], v[92:93], v[72:73]
	v_fma_f64 v[20:21], v[22:23], v[70:71], v[20:21]
	buffer_store_dword v20, off, s[56:59], 0 offset:32 ; 4-byte Folded Spill
	buffer_store_dword v21, off, s[56:59], 0 offset:36 ; 4-byte Folded Spill
	v_mul_f64 v[20:21], v[22:23], v[72:73]
	v_fma_f64 v[20:21], v[92:93], v[70:71], -v[20:21]
	buffer_store_dword v20, off, s[56:59], 0 offset:48 ; 4-byte Folded Spill
	buffer_store_dword v21, off, s[56:59], 0 offset:52 ; 4-byte Folded Spill
	v_mul_f64 v[20:21], v[86:87], v[36:37]
	v_fma_f64 v[20:21], v[16:17], v[34:35], v[20:21]
	v_mul_f64 v[16:17], v[16:17], v[36:37]
	buffer_store_dword v20, off, s[56:59], 0 offset:208 ; 4-byte Folded Spill
	buffer_store_dword v21, off, s[56:59], 0 offset:212 ; 4-byte Folded Spill
	v_fma_f64 v[16:17], v[86:87], v[34:35], -v[16:17]
	buffer_store_dword v16, off, s[56:59], 0 offset:176 ; 4-byte Folded Spill
	buffer_store_dword v17, off, s[56:59], 0 offset:180 ; 4-byte Folded Spill
	v_mul_f64 v[16:17], v[88:89], v[30:31]
	v_fma_f64 v[16:17], v[18:19], v[28:29], v[16:17]
	buffer_store_dword v16, off, s[56:59], 0 offset:216 ; 4-byte Folded Spill
	buffer_store_dword v17, off, s[56:59], 0 offset:220 ; 4-byte Folded Spill
	v_mul_f64 v[16:17], v[18:19], v[30:31]
	v_fma_f64 v[16:17], v[88:89], v[28:29], -v[16:17]
	buffer_store_dword v16, off, s[56:59], 0 offset:136 ; 4-byte Folded Spill
	buffer_store_dword v17, off, s[56:59], 0 offset:140 ; 4-byte Folded Spill
	v_mul_f64 v[16:17], v[78:79], v[26:27]
	v_fma_f64 v[16:17], v[12:13], v[24:25], v[16:17]
	v_mul_f64 v[12:13], v[12:13], v[26:27]
	buffer_store_dword v16, off, s[56:59], 0 offset:224 ; 4-byte Folded Spill
	buffer_store_dword v17, off, s[56:59], 0 offset:228 ; 4-byte Folded Spill
	v_fma_f64 v[12:13], v[78:79], v[24:25], -v[12:13]
	buffer_store_dword v12, off, s[56:59], 0 offset:112 ; 4-byte Folded Spill
	buffer_store_dword v13, off, s[56:59], 0 offset:116 ; 4-byte Folded Spill
	s_clause 0x3
	global_load_dwordx4 v[16:19], v62, s[8:9] offset:240
	global_load_dwordx4 v[20:23], v62, s[8:9] offset:224
	global_load_dwordx4 v[24:27], v62, s[8:9] offset:208
	global_load_dwordx4 v[28:31], v62, s[8:9] offset:192
	s_waitcnt vmcnt(0)
	v_mul_f64 v[12:13], v[80:81], v[30:31]
	v_fma_f64 v[12:13], v[14:15], v[28:29], v[12:13]
	buffer_store_dword v12, off, s[56:59], 0 offset:232 ; 4-byte Folded Spill
	buffer_store_dword v13, off, s[56:59], 0 offset:236 ; 4-byte Folded Spill
	v_mul_f64 v[12:13], v[14:15], v[30:31]
	v_fma_f64 v[12:13], v[80:81], v[28:29], -v[12:13]
	buffer_store_dword v12, off, s[56:59], 0 offset:152 ; 4-byte Folded Spill
	buffer_store_dword v13, off, s[56:59], 0 offset:156 ; 4-byte Folded Spill
	v_mul_f64 v[12:13], v[74:75], v[26:27]
	v_fma_f64 v[12:13], v[8:9], v[24:25], v[12:13]
	v_mul_f64 v[8:9], v[8:9], v[26:27]
	buffer_store_dword v12, off, s[56:59], 0 offset:240 ; 4-byte Folded Spill
	buffer_store_dword v13, off, s[56:59], 0 offset:244 ; 4-byte Folded Spill
	v_fma_f64 v[8:9], v[74:75], v[24:25], -v[8:9]
	buffer_store_dword v8, off, s[56:59], 0 offset:120 ; 4-byte Folded Spill
	buffer_store_dword v9, off, s[56:59], 0 offset:124 ; 4-byte Folded Spill
	v_mul_f64 v[8:9], v[76:77], v[22:23]
	v_fma_f64 v[8:9], v[10:11], v[20:21], v[8:9]
	buffer_store_dword v8, off, s[56:59], 0 offset:248 ; 4-byte Folded Spill
	buffer_store_dword v9, off, s[56:59], 0 offset:252 ; 4-byte Folded Spill
	v_mul_f64 v[8:9], v[10:11], v[22:23]
	v_fma_f64 v[8:9], v[76:77], v[20:21], -v[8:9]
	buffer_store_dword v8, off, s[56:59], 0 offset:80 ; 4-byte Folded Spill
	buffer_store_dword v9, off, s[56:59], 0 offset:84 ; 4-byte Folded Spill
	v_mul_f64 v[8:9], v[32:33], v[18:19]
	v_fma_f64 v[126:127], v[253:254], v[16:17], v[8:9]
	v_mul_f64 v[8:9], v[253:254], v[18:19]
	v_fma_f64 v[8:9], v[32:33], v[16:17], -v[8:9]
	buffer_store_dword v8, off, s[56:59], 0 offset:40 ; 4-byte Folded Spill
	buffer_store_dword v9, off, s[56:59], 0 offset:44 ; 4-byte Folded Spill
	v_add_f64 v[8:9], v[251:252], v[237:238]
	buffer_store_dword v237, off, s[56:59], 0 offset:400 ; 4-byte Folded Spill
	buffer_store_dword v238, off, s[56:59], 0 offset:404 ; 4-byte Folded Spill
	buffer_store_dword v54, off, s[56:59], 0 offset:352 ; 4-byte Folded Spill
	buffer_store_dword v55, off, s[56:59], 0 offset:356 ; 4-byte Folded Spill
	buffer_store_dword v140, off, s[56:59], 0 offset:360 ; 4-byte Folded Spill
	buffer_store_dword v141, off, s[56:59], 0 offset:364 ; 4-byte Folded Spill
	v_add_f64 v[8:9], v[8:9], v[241:242]
	v_add_f64 v[8:9], v[8:9], v[68:69]
	buffer_store_dword v68, off, s[56:59], 0 offset:408 ; 4-byte Folded Spill
	buffer_store_dword v69, off, s[56:59], 0 offset:412 ; 4-byte Folded Spill
	;; [unrolled: 1-line block ×6, first 2 shown]
	v_add_f64 v[8:9], v[8:9], v[106:107]
	v_add_f64 v[8:9], v[8:9], v[176:177]
	;; [unrolled: 1-line block ×12, first 2 shown]
	v_add_f64 v[10:11], v[222:223], -v[54:55]
	v_add_f64 v[70:71], v[239:240], -v[140:141]
	v_mov_b32_e32 v54, v188
	v_mov_b32_e32 v55, v189
	;; [unrolled: 1-line block ×4, first 2 shown]
	v_add_f64 v[12:13], v[8:9], v[249:250]
	v_add_f64 v[8:9], v[237:238], v[249:250]
	v_mul_f64 v[14:15], v[10:11], s[4:5]
	v_mul_f64 v[18:19], v[10:11], s[10:11]
	;; [unrolled: 1-line block ×9, first 2 shown]
	v_fma_f64 v[16:17], v[8:9], s[6:7], v[14:15]
	v_fma_f64 v[14:15], v[8:9], s[6:7], -v[14:15]
	v_fma_f64 v[20:21], v[8:9], s[14:15], v[18:19]
	v_fma_f64 v[18:19], v[8:9], s[14:15], -v[18:19]
	;; [unrolled: 2-line block ×8, first 2 shown]
	v_add_f64 v[10:11], v[241:242], v[247:248]
	v_add_f64 v[16:17], v[251:252], v[16:17]
	v_add_f64 v[14:15], v[251:252], v[14:15]
	v_add_f64 v[20:21], v[251:252], v[20:21]
	v_add_f64 v[18:19], v[251:252], v[18:19]
	v_add_f64 v[24:25], v[251:252], v[24:25]
	v_add_f64 v[22:23], v[251:252], v[22:23]
	v_add_f64 v[28:29], v[251:252], v[28:29]
	v_add_f64 v[26:27], v[251:252], v[26:27]
	v_add_f64 v[32:33], v[251:252], v[32:33]
	v_add_f64 v[30:31], v[251:252], v[30:31]
	v_add_f64 v[36:37], v[251:252], v[36:37]
	v_add_f64 v[34:35], v[251:252], v[34:35]
	v_add_f64 v[56:57], v[251:252], v[56:57]
	v_add_f64 v[38:39], v[251:252], v[38:39]
	v_add_f64 v[62:63], v[251:252], v[62:63]
	v_add_f64 v[8:9], v[251:252], v[8:9]
	v_fma_f64 v[74:75], v[10:11], s[14:15], v[72:73]
	v_fma_f64 v[72:73], v[10:11], s[14:15], -v[72:73]
	v_add_f64 v[16:17], v[74:75], v[16:17]
	v_add_f64 v[14:15], v[72:73], v[14:15]
	v_mul_f64 v[72:73], v[70:71], s[18:19]
	v_fma_f64 v[74:75], v[10:11], s[24:25], v[72:73]
	v_fma_f64 v[72:73], v[10:11], s[24:25], -v[72:73]
	v_add_f64 v[20:21], v[74:75], v[20:21]
	v_add_f64 v[18:19], v[72:73], v[18:19]
	v_mul_f64 v[72:73], v[70:71], s[22:23]
	;; [unrolled: 5-line block ×6, first 2 shown]
	v_mul_f64 v[70:71], v[70:71], s[46:47]
	v_fma_f64 v[74:75], v[10:11], s[16:17], v[72:73]
	v_fma_f64 v[72:73], v[10:11], s[16:17], -v[72:73]
	v_add_f64 v[56:57], v[74:75], v[56:57]
	v_add_f64 v[38:39], v[72:73], v[38:39]
	v_fma_f64 v[72:73], v[10:11], s[6:7], v[70:71]
	v_fma_f64 v[10:11], v[10:11], s[6:7], -v[70:71]
	v_add_f64 v[70:71], v[235:236], -v[184:185]
	v_mov_b32_e32 v184, v196
	v_mov_b32_e32 v185, v197
	v_add_f64 v[62:63], v[72:73], v[62:63]
	v_add_f64 v[8:9], v[10:11], v[8:9]
	;; [unrolled: 1-line block ×3, first 2 shown]
	v_mul_f64 v[72:73], v[70:71], s[12:13]
	v_mov_b32_e32 v68, v106
	v_mov_b32_e32 v69, v107
	;; [unrolled: 1-line block ×3, first 2 shown]
	v_fma_f64 v[74:75], v[10:11], s[16:17], v[72:73]
	v_fma_f64 v[72:73], v[10:11], s[16:17], -v[72:73]
	v_add_f64 v[16:17], v[74:75], v[16:17]
	v_add_f64 v[14:15], v[72:73], v[14:15]
	v_mul_f64 v[72:73], v[70:71], s[22:23]
	v_fma_f64 v[74:75], v[10:11], s[34:35], v[72:73]
	v_fma_f64 v[72:73], v[10:11], s[34:35], -v[72:73]
	v_add_f64 v[20:21], v[74:75], v[20:21]
	v_add_f64 v[18:19], v[72:73], v[18:19]
	v_mul_f64 v[72:73], v[70:71], s[48:49]
	;; [unrolled: 5-line block ×6, first 2 shown]
	v_mul_f64 v[70:71], v[70:71], s[26:27]
	v_fma_f64 v[74:75], v[10:11], s[24:25], v[72:73]
	v_fma_f64 v[72:73], v[10:11], s[24:25], -v[72:73]
	v_add_f64 v[56:57], v[74:75], v[56:57]
	v_add_f64 v[38:39], v[72:73], v[38:39]
	v_fma_f64 v[72:73], v[10:11], s[36:37], v[70:71]
	v_fma_f64 v[10:11], v[10:11], s[36:37], -v[70:71]
	v_add_f64 v[70:71], v[228:229], -v[188:189]
	v_mov_b32_e32 v189, v7
	v_mov_b32_e32 v188, v6
	;; [unrolled: 1-line block ×4, first 2 shown]
	s_clause 0x3
	buffer_load_dword v146, off, s[56:59], 0 offset:444
	buffer_load_dword v147, off, s[56:59], 0 offset:448
	;; [unrolled: 1-line block ×4, first 2 shown]
	buffer_store_dword v180, off, s[56:59], 0 offset:376 ; 4-byte Folded Spill
	buffer_store_dword v181, off, s[56:59], 0 offset:380 ; 4-byte Folded Spill
	;; [unrolled: 1-line block ×4, first 2 shown]
	v_add_f64 v[162:163], v[196:197], -v[6:7]
	v_add_f64 v[62:63], v[72:73], v[62:63]
	v_add_f64 v[8:9], v[10:11], v[8:9]
	;; [unrolled: 1-line block ×3, first 2 shown]
	v_mul_f64 v[72:73], v[70:71], s[18:19]
	v_fma_f64 v[74:75], v[10:11], s[24:25], v[72:73]
	v_fma_f64 v[72:73], v[10:11], s[24:25], -v[72:73]
	v_add_f64 v[16:17], v[74:75], v[16:17]
	v_add_f64 v[14:15], v[72:73], v[14:15]
	v_mul_f64 v[72:73], v[70:71], s[30:31]
	v_fma_f64 v[74:75], v[10:11], s[38:39], v[72:73]
	v_fma_f64 v[72:73], v[10:11], s[38:39], -v[72:73]
	v_add_f64 v[20:21], v[74:75], v[20:21]
	v_add_f64 v[18:19], v[72:73], v[18:19]
	;; [unrolled: 5-line block ×6, first 2 shown]
	v_mul_f64 v[72:73], v[70:71], s[52:53]
	v_mul_f64 v[70:71], v[70:71], s[50:51]
	v_fma_f64 v[74:75], v[10:11], s[34:35], v[72:73]
	v_fma_f64 v[72:73], v[10:11], s[34:35], -v[72:73]
	v_add_f64 v[56:57], v[74:75], v[56:57]
	v_add_f64 v[38:39], v[72:73], v[38:39]
	v_fma_f64 v[72:73], v[10:11], s[14:15], v[70:71]
	v_fma_f64 v[10:11], v[10:11], s[14:15], -v[70:71]
	s_waitcnt vmcnt(0)
	v_add_f64 v[70:71], v[226:227], -v[188:189]
	v_add_f64 v[62:63], v[72:73], v[62:63]
	v_add_f64 v[8:9], v[10:11], v[8:9]
	v_add_f64 v[10:11], v[176:177], v[218:219]
	v_mul_f64 v[72:73], v[70:71], s[20:21]
	v_fma_f64 v[74:75], v[10:11], s[28:29], v[72:73]
	v_fma_f64 v[72:73], v[10:11], s[28:29], -v[72:73]
	v_add_f64 v[16:17], v[74:75], v[16:17]
	v_add_f64 v[14:15], v[72:73], v[14:15]
	v_mul_f64 v[72:73], v[70:71], s[42:43]
	v_fma_f64 v[74:75], v[10:11], s[36:37], v[72:73]
	v_fma_f64 v[72:73], v[10:11], s[36:37], -v[72:73]
	v_add_f64 v[20:21], v[74:75], v[20:21]
	v_add_f64 v[18:19], v[72:73], v[18:19]
	v_mul_f64 v[72:73], v[70:71], s[50:51]
	v_fma_f64 v[74:75], v[10:11], s[14:15], v[72:73]
	v_fma_f64 v[72:73], v[10:11], s[14:15], -v[72:73]
	v_add_f64 v[24:25], v[74:75], v[24:25]
	v_add_f64 v[22:23], v[72:73], v[22:23]
	v_mul_f64 v[72:73], v[70:71], s[12:13]
	v_fma_f64 v[74:75], v[10:11], s[16:17], v[72:73]
	v_fma_f64 v[72:73], v[10:11], s[16:17], -v[72:73]
	v_add_f64 v[28:29], v[74:75], v[28:29]
	v_add_f64 v[26:27], v[72:73], v[26:27]
	v_mul_f64 v[72:73], v[70:71], s[30:31]
	v_fma_f64 v[74:75], v[10:11], s[38:39], v[72:73]
	v_fma_f64 v[72:73], v[10:11], s[38:39], -v[72:73]
	v_add_f64 v[32:33], v[74:75], v[32:33]
	v_add_f64 v[30:31], v[72:73], v[30:31]
	v_mul_f64 v[72:73], v[70:71], s[54:55]
	v_fma_f64 v[74:75], v[10:11], s[24:25], v[72:73]
	v_fma_f64 v[72:73], v[10:11], s[24:25], -v[72:73]
	v_add_f64 v[36:37], v[74:75], v[36:37]
	v_add_f64 v[34:35], v[72:73], v[34:35]
	v_mul_f64 v[72:73], v[70:71], s[4:5]
	v_mul_f64 v[70:71], v[70:71], s[22:23]
	v_fma_f64 v[74:75], v[10:11], s[6:7], v[72:73]
	v_fma_f64 v[72:73], v[10:11], s[6:7], -v[72:73]
	v_add_f64 v[56:57], v[74:75], v[56:57]
	v_add_f64 v[38:39], v[72:73], v[38:39]
	v_fma_f64 v[72:73], v[10:11], s[34:35], v[70:71]
	v_fma_f64 v[10:11], v[10:11], s[34:35], -v[70:71]
	v_add_f64 v[70:71], v[164:165], -v[168:169]
	v_add_f64 v[62:63], v[72:73], v[62:63]
	v_add_f64 v[8:9], v[10:11], v[8:9]
	v_add_f64 v[10:11], v[180:181], v[216:217]
	v_mul_f64 v[72:73], v[70:71], s[22:23]
	v_fma_f64 v[74:75], v[10:11], s[34:35], v[72:73]
	v_fma_f64 v[72:73], v[10:11], s[34:35], -v[72:73]
	v_add_f64 v[16:17], v[74:75], v[16:17]
	v_add_f64 v[14:15], v[72:73], v[14:15]
	v_mul_f64 v[72:73], v[70:71], s[40:41]
	v_fma_f64 v[74:75], v[10:11], s[28:29], v[72:73]
	v_fma_f64 v[72:73], v[10:11], s[28:29], -v[72:73]
	v_add_f64 v[20:21], v[74:75], v[20:21]
	v_add_f64 v[18:19], v[72:73], v[18:19]
	v_mul_f64 v[72:73], v[70:71], s[4:5]
	v_fma_f64 v[74:75], v[10:11], s[6:7], v[72:73]
	v_fma_f64 v[72:73], v[10:11], s[6:7], -v[72:73]
	v_add_f64 v[24:25], v[74:75], v[24:25]
	v_add_f64 v[22:23], v[72:73], v[22:23]
	v_mul_f64 v[72:73], v[70:71], s[26:27]
	v_fma_f64 v[74:75], v[10:11], s[36:37], v[72:73]
	v_fma_f64 v[72:73], v[10:11], s[36:37], -v[72:73]
	v_add_f64 v[28:29], v[74:75], v[28:29]
	v_add_f64 v[26:27], v[72:73], v[26:27]
	v_mul_f64 v[72:73], v[70:71], s[54:55]
	v_fma_f64 v[74:75], v[10:11], s[24:25], v[72:73]
	v_fma_f64 v[72:73], v[10:11], s[24:25], -v[72:73]
	v_add_f64 v[32:33], v[74:75], v[32:33]
	v_add_f64 v[30:31], v[72:73], v[30:31]
	v_mul_f64 v[72:73], v[70:71], s[10:11]
	v_fma_f64 v[74:75], v[10:11], s[14:15], v[72:73]
	v_fma_f64 v[72:73], v[10:11], s[14:15], -v[72:73]
	v_add_f64 v[36:37], v[74:75], v[36:37]
	v_add_f64 v[34:35], v[72:73], v[34:35]
	v_mul_f64 v[72:73], v[70:71], s[30:31]
	v_mul_f64 v[70:71], v[70:71], s[44:45]
	v_fma_f64 v[74:75], v[10:11], s[38:39], v[72:73]
	v_fma_f64 v[72:73], v[10:11], s[38:39], -v[72:73]
	v_add_f64 v[56:57], v[74:75], v[56:57]
	v_add_f64 v[38:39], v[72:73], v[38:39]
	v_fma_f64 v[72:73], v[10:11], s[16:17], v[70:71]
	v_fma_f64 v[10:11], v[10:11], s[16:17], -v[70:71]
	;; [unrolled: 42-line block ×3, first 2 shown]
	v_mul_f64 v[70:71], v[162:163], s[30:31]
	v_add_f64 v[62:63], v[72:73], v[62:63]
	v_add_f64 v[8:9], v[10:11], v[8:9]
	;; [unrolled: 1-line block ×3, first 2 shown]
	v_fma_f64 v[72:73], v[10:11], s[38:39], v[70:71]
	v_add_f64 v[84:85], v[72:73], v[16:17]
	v_fma_f64 v[16:17], v[10:11], s[38:39], -v[70:71]
	v_add_f64 v[170:171], v[16:17], v[14:15]
	v_mul_f64 v[14:15], v[162:163], s[46:47]
	v_fma_f64 v[16:17], v[10:11], s[6:7], v[14:15]
	v_fma_f64 v[14:15], v[10:11], s[6:7], -v[14:15]
	v_add_f64 v[94:95], v[16:17], v[20:21]
	v_add_f64 v[174:175], v[14:15], v[18:19]
	v_mul_f64 v[14:15], v[162:163], s[26:27]
	v_fma_f64 v[16:17], v[10:11], s[36:37], v[14:15]
	v_fma_f64 v[14:15], v[10:11], s[36:37], -v[14:15]
	v_add_f64 v[96:97], v[16:17], v[24:25]
	;; [unrolled: 5-line block ×7, first 2 shown]
	v_add_f64 v[230:231], v[10:11], v[8:9]
	v_add_f64 v[8:9], v[4:5], v[50:51]
	buffer_store_dword v50, off, s[56:59], 0 offset:344 ; 4-byte Folded Spill
	buffer_store_dword v51, off, s[56:59], 0 offset:348 ; 4-byte Folded Spill
	v_add_f64 v[10:11], v[190:191], -v[40:41]
	v_add_f64 v[8:9], v[8:9], v[42:43]
	buffer_store_dword v42, off, s[56:59], 0 offset:336 ; 4-byte Folded Spill
	buffer_store_dword v43, off, s[56:59], 0 offset:340 ; 4-byte Folded Spill
	v_mul_f64 v[14:15], v[10:11], s[4:5]
	v_mul_f64 v[18:19], v[10:11], s[10:11]
	;; [unrolled: 1-line block ×8, first 2 shown]
	v_add_f64 v[8:9], v[8:9], v[214:215]
	buffer_store_dword v214, off, s[56:59], 0 offset:304 ; 4-byte Folded Spill
	buffer_store_dword v215, off, s[56:59], 0 offset:308 ; 4-byte Folded Spill
	;; [unrolled: 1-line block ×4, first 2 shown]
	v_add_f64 v[8:9], v[8:9], v[204:205]
	buffer_store_dword v204, off, s[56:59], 0 offset:272 ; 4-byte Folded Spill
	buffer_store_dword v205, off, s[56:59], 0 offset:276 ; 4-byte Folded Spill
	;; [unrolled: 1-line block ×6, first 2 shown]
	v_add_f64 v[8:9], v[8:9], v[124:125]
	v_add_f64 v[8:9], v[8:9], v[136:137]
	;; [unrolled: 1-line block ×6, first 2 shown]
	buffer_store_dword v210, off, s[56:59], 0 offset:288 ; 4-byte Folded Spill
	buffer_store_dword v211, off, s[56:59], 0 offset:292 ; 4-byte Folded Spill
	;; [unrolled: 1-line block ×10, first 2 shown]
	s_waitcnt_vscnt null, 0x0
	s_barrier
	buffer_gl0_inv
	v_add_f64 v[8:9], v[8:9], v[142:143]
	v_add_f64 v[8:9], v[8:9], v[138:139]
	;; [unrolled: 1-line block ×7, first 2 shown]
	v_mov_b32_e32 v51, v47
	v_mov_b32_e32 v50, v46
	v_fma_f64 v[16:17], v[8:9], s[6:7], v[14:15]
	v_fma_f64 v[14:15], v[8:9], s[6:7], -v[14:15]
	v_fma_f64 v[20:21], v[8:9], s[14:15], v[18:19]
	v_fma_f64 v[18:19], v[8:9], s[14:15], -v[18:19]
	;; [unrolled: 2-line block ×8, first 2 shown]
	v_add_f64 v[10:11], v[46:47], -v[158:159]
	v_add_f64 v[16:17], v[4:5], v[16:17]
	v_add_f64 v[14:15], v[4:5], v[14:15]
	;; [unrolled: 1-line block ×17, first 2 shown]
	v_mul_f64 v[166:167], v[10:11], s[10:11]
	v_fma_f64 v[172:173], v[8:9], s[14:15], v[166:167]
	v_fma_f64 v[166:167], v[8:9], s[14:15], -v[166:167]
	v_add_f64 v[16:17], v[172:173], v[16:17]
	v_add_f64 v[14:15], v[166:167], v[14:15]
	v_mul_f64 v[166:167], v[10:11], s[18:19]
	v_fma_f64 v[172:173], v[8:9], s[24:25], v[166:167]
	v_fma_f64 v[166:167], v[8:9], s[24:25], -v[166:167]
	v_add_f64 v[20:21], v[172:173], v[20:21]
	v_add_f64 v[18:19], v[166:167], v[18:19]
	v_mul_f64 v[166:167], v[10:11], s[22:23]
	v_fma_f64 v[172:173], v[8:9], s[34:35], v[166:167]
	v_fma_f64 v[166:167], v[8:9], s[34:35], -v[166:167]
	v_add_f64 v[86:87], v[60:61], v[66:67]
	v_add_f64 v[88:89], v[110:111], -v[202:203]
	v_add_f64 v[26:27], v[172:173], v[26:27]
	v_add_f64 v[24:25], v[166:167], v[24:25]
	v_mul_f64 v[166:167], v[10:11], s[30:31]
	v_fma_f64 v[172:173], v[8:9], s[38:39], v[166:167]
	v_fma_f64 v[166:167], v[8:9], s[38:39], -v[166:167]
	v_add_f64 v[30:31], v[172:173], v[30:31]
	v_add_f64 v[28:29], v[166:167], v[28:29]
	v_mul_f64 v[166:167], v[10:11], s[42:43]
	v_fma_f64 v[172:173], v[8:9], s[36:37], v[166:167]
	v_fma_f64 v[166:167], v[8:9], s[36:37], -v[166:167]
	;; [unrolled: 5-line block ×3, first 2 shown]
	v_add_f64 v[38:39], v[172:173], v[38:39]
	v_add_f64 v[36:37], v[166:167], v[36:37]
	v_mul_f64 v[166:167], v[10:11], s[44:45]
	v_mul_f64 v[10:11], v[10:11], s[46:47]
	v_fma_f64 v[172:173], v[8:9], s[16:17], v[166:167]
	v_fma_f64 v[166:167], v[8:9], s[16:17], -v[166:167]
	v_add_f64 v[62:63], v[172:173], v[62:63]
	v_add_f64 v[56:57], v[166:167], v[56:57]
	v_fma_f64 v[166:167], v[8:9], s[6:7], v[10:11]
	v_fma_f64 v[8:9], v[8:9], s[6:7], -v[10:11]
	v_add_f64 v[10:11], v[156:157], -v[44:45]
	v_mov_b32_e32 v156, v202
	v_mov_b32_e32 v157, v203
	v_add_f64 v[162:163], v[166:167], v[162:163]
	v_add_f64 v[4:5], v[8:9], v[4:5]
	;; [unrolled: 1-line block ×3, first 2 shown]
	v_mul_f64 v[166:167], v[10:11], s[12:13]
	v_mov_b32_e32 v215, v125
	v_mov_b32_e32 v214, v124
	;; [unrolled: 1-line block ×4, first 2 shown]
	v_fma_f64 v[172:173], v[8:9], s[16:17], v[166:167]
	v_fma_f64 v[166:167], v[8:9], s[16:17], -v[166:167]
	v_add_f64 v[16:17], v[172:173], v[16:17]
	v_add_f64 v[14:15], v[166:167], v[14:15]
	v_mul_f64 v[166:167], v[10:11], s[22:23]
	v_fma_f64 v[172:173], v[8:9], s[34:35], v[166:167]
	v_fma_f64 v[166:167], v[8:9], s[34:35], -v[166:167]
	v_add_f64 v[20:21], v[172:173], v[20:21]
	v_add_f64 v[18:19], v[166:167], v[18:19]
	v_mul_f64 v[166:167], v[10:11], s[48:49]
	;; [unrolled: 5-line block ×6, first 2 shown]
	v_mul_f64 v[10:11], v[10:11], s[26:27]
	v_fma_f64 v[172:173], v[8:9], s[24:25], v[166:167]
	v_fma_f64 v[166:167], v[8:9], s[24:25], -v[166:167]
	v_add_f64 v[62:63], v[172:173], v[62:63]
	v_add_f64 v[56:57], v[166:167], v[56:57]
	v_fma_f64 v[166:167], v[8:9], s[36:37], v[10:11]
	v_fma_f64 v[8:9], v[8:9], s[36:37], -v[10:11]
	v_add_f64 v[10:11], v[144:145], -v[48:49]
	v_mov_b32_e32 v144, v200
	v_mov_b32_e32 v145, v201
	v_add_f64 v[162:163], v[166:167], v[162:163]
	v_add_f64 v[4:5], v[8:9], v[4:5]
	v_add_f64 v[8:9], v[204:205], v[134:135]
	v_mul_f64 v[166:167], v[10:11], s[18:19]
	v_fma_f64 v[172:173], v[8:9], s[24:25], v[166:167]
	v_fma_f64 v[166:167], v[8:9], s[24:25], -v[166:167]
	v_add_f64 v[16:17], v[172:173], v[16:17]
	v_add_f64 v[14:15], v[166:167], v[14:15]
	v_mul_f64 v[166:167], v[10:11], s[30:31]
	v_fma_f64 v[172:173], v[8:9], s[38:39], v[166:167]
	v_fma_f64 v[166:167], v[8:9], s[38:39], -v[166:167]
	v_add_f64 v[20:21], v[172:173], v[20:21]
	v_add_f64 v[18:19], v[166:167], v[18:19]
	v_mul_f64 v[166:167], v[10:11], s[40:41]
	v_fma_f64 v[172:173], v[8:9], s[28:29], v[166:167]
	v_fma_f64 v[166:167], v[8:9], s[28:29], -v[166:167]
	v_add_f64 v[26:27], v[172:173], v[26:27]
	v_add_f64 v[24:25], v[166:167], v[24:25]
	v_mul_f64 v[166:167], v[10:11], s[46:47]
	v_fma_f64 v[172:173], v[8:9], s[6:7], v[166:167]
	v_fma_f64 v[166:167], v[8:9], s[6:7], -v[166:167]
	v_add_f64 v[30:31], v[172:173], v[30:31]
	v_add_f64 v[28:29], v[166:167], v[28:29]
	v_mul_f64 v[166:167], v[10:11], s[12:13]
	v_fma_f64 v[172:173], v[8:9], s[16:17], v[166:167]
	v_fma_f64 v[166:167], v[8:9], s[16:17], -v[166:167]
	v_add_f64 v[34:35], v[172:173], v[34:35]
	v_add_f64 v[32:33], v[166:167], v[32:33]
	v_mul_f64 v[166:167], v[10:11], s[26:27]
	v_fma_f64 v[172:173], v[8:9], s[36:37], v[166:167]
	v_fma_f64 v[166:167], v[8:9], s[36:37], -v[166:167]
	v_add_f64 v[38:39], v[172:173], v[38:39]
	v_add_f64 v[36:37], v[166:167], v[36:37]
	v_mul_f64 v[166:167], v[10:11], s[52:53]
	v_mul_f64 v[10:11], v[10:11], s[50:51]
	v_fma_f64 v[172:173], v[8:9], s[34:35], v[166:167]
	v_fma_f64 v[166:167], v[8:9], s[34:35], -v[166:167]
	v_add_f64 v[62:63], v[172:173], v[62:63]
	v_add_f64 v[56:57], v[166:167], v[56:57]
	v_fma_f64 v[166:167], v[8:9], s[14:15], v[10:11]
	v_fma_f64 v[8:9], v[8:9], s[14:15], -v[10:11]
	v_add_f64 v[10:11], v[132:133], -v[52:53]
	v_add_f64 v[162:163], v[166:167], v[162:163]
	v_add_f64 v[4:5], v[8:9], v[4:5]
	v_add_f64 v[8:9], v[214:215], v[138:139]
	v_mul_f64 v[166:167], v[10:11], s[20:21]
	v_fma_f64 v[172:173], v[8:9], s[28:29], v[166:167]
	v_fma_f64 v[166:167], v[8:9], s[28:29], -v[166:167]
	v_add_f64 v[16:17], v[172:173], v[16:17]
	v_add_f64 v[14:15], v[166:167], v[14:15]
	v_mul_f64 v[166:167], v[10:11], s[42:43]
	v_fma_f64 v[172:173], v[8:9], s[36:37], v[166:167]
	v_fma_f64 v[166:167], v[8:9], s[36:37], -v[166:167]
	v_add_f64 v[20:21], v[172:173], v[20:21]
	v_add_f64 v[18:19], v[166:167], v[18:19]
	v_mul_f64 v[166:167], v[10:11], s[50:51]
	v_fma_f64 v[172:173], v[8:9], s[14:15], v[166:167]
	v_fma_f64 v[166:167], v[8:9], s[14:15], -v[166:167]
	v_add_f64 v[26:27], v[172:173], v[26:27]
	v_add_f64 v[24:25], v[166:167], v[24:25]
	v_mul_f64 v[166:167], v[10:11], s[12:13]
	v_fma_f64 v[172:173], v[8:9], s[16:17], v[166:167]
	v_fma_f64 v[166:167], v[8:9], s[16:17], -v[166:167]
	v_add_f64 v[30:31], v[172:173], v[30:31]
	v_add_f64 v[28:29], v[166:167], v[28:29]
	v_mul_f64 v[166:167], v[10:11], s[30:31]
	v_fma_f64 v[172:173], v[8:9], s[38:39], v[166:167]
	v_fma_f64 v[166:167], v[8:9], s[38:39], -v[166:167]
	v_add_f64 v[34:35], v[172:173], v[34:35]
	v_add_f64 v[32:33], v[166:167], v[32:33]
	v_mul_f64 v[166:167], v[10:11], s[54:55]
	v_fma_f64 v[172:173], v[8:9], s[24:25], v[166:167]
	v_fma_f64 v[166:167], v[8:9], s[24:25], -v[166:167]
	v_add_f64 v[38:39], v[172:173], v[38:39]
	v_add_f64 v[36:37], v[166:167], v[36:37]
	v_mul_f64 v[166:167], v[10:11], s[4:5]
	v_mul_f64 v[10:11], v[10:11], s[22:23]
	v_fma_f64 v[172:173], v[8:9], s[6:7], v[166:167]
	v_fma_f64 v[166:167], v[8:9], s[6:7], -v[166:167]
	v_add_f64 v[62:63], v[172:173], v[62:63]
	v_add_f64 v[56:57], v[166:167], v[56:57]
	v_fma_f64 v[166:167], v[8:9], s[34:35], v[10:11]
	v_fma_f64 v[8:9], v[8:9], s[34:35], -v[10:11]
	v_add_f64 v[10:11], v[124:125], -v[58:59]
	;; [unrolled: 42-line block ×3, first 2 shown]
	v_add_f64 v[162:163], v[166:167], v[162:163]
	v_add_f64 v[4:5], v[8:9], v[4:5]
	;; [unrolled: 1-line block ×3, first 2 shown]
	v_mul_f64 v[166:167], v[10:11], s[26:27]
	v_fma_f64 v[172:173], v[8:9], s[36:37], v[166:167]
	v_fma_f64 v[166:167], v[8:9], s[36:37], -v[166:167]
	v_add_f64 v[16:17], v[172:173], v[16:17]
	v_add_f64 v[14:15], v[166:167], v[14:15]
	v_mul_f64 v[166:167], v[10:11], s[44:45]
	v_fma_f64 v[172:173], v[8:9], s[16:17], v[166:167]
	v_fma_f64 v[166:167], v[8:9], s[16:17], -v[166:167]
	v_add_f64 v[20:21], v[172:173], v[20:21]
	v_add_f64 v[18:19], v[166:167], v[18:19]
	;; [unrolled: 5-line block ×4, first 2 shown]
	v_mul_f64 v[166:167], v[10:11], s[4:5]
	v_fma_f64 v[172:173], v[8:9], s[6:7], v[166:167]
	v_add_f64 v[172:173], v[172:173], v[34:35]
	v_fma_f64 v[34:35], v[8:9], s[6:7], -v[166:167]
	v_add_f64 v[32:33], v[34:35], v[32:33]
	v_mul_f64 v[34:35], v[10:11], s[30:31]
	v_fma_f64 v[166:167], v[8:9], s[38:39], v[34:35]
	v_fma_f64 v[34:35], v[8:9], s[38:39], -v[34:35]
	v_add_f64 v[212:213], v[166:167], v[38:39]
	v_add_f64 v[76:77], v[34:35], v[36:37]
	v_mul_f64 v[34:35], v[10:11], s[50:51]
	v_mul_f64 v[10:11], v[10:11], s[20:21]
	v_fma_f64 v[36:37], v[8:9], s[14:15], v[34:35]
	v_fma_f64 v[34:35], v[8:9], s[14:15], -v[34:35]
	v_add_f64 v[62:63], v[36:37], v[62:63]
	v_add_f64 v[56:57], v[34:35], v[56:57]
	v_fma_f64 v[34:35], v[8:9], s[28:29], v[10:11]
	v_fma_f64 v[8:9], v[8:9], s[28:29], -v[10:11]
	v_add_f64 v[80:81], v[34:35], v[162:163]
	v_add_f64 v[100:101], v[8:9], v[4:5]
	v_mul_f64 v[4:5], v[88:89], s[30:31]
	v_fma_f64 v[8:9], v[86:87], s[38:39], v[4:5]
	v_fma_f64 v[4:5], v[86:87], s[38:39], -v[4:5]
	v_add_f64 v[166:167], v[8:9], v[16:17]
	v_mul_f64 v[8:9], v[88:89], s[46:47]
	v_add_f64 v[4:5], v[4:5], v[14:15]
	v_fma_f64 v[10:11], v[86:87], s[6:7], v[8:9]
	v_fma_f64 v[8:9], v[86:87], s[6:7], -v[8:9]
	v_add_f64 v[38:39], v[10:11], v[20:21]
	v_mul_f64 v[10:11], v[88:89], s[26:27]
	v_add_f64 v[8:9], v[8:9], v[18:19]
	;; [unrolled: 5-line block ×3, first 2 shown]
	v_mul_f64 v[26:27], v[88:89], s[54:55]
	v_fma_f64 v[16:17], v[86:87], s[14:15], v[14:15]
	v_fma_f64 v[14:15], v[86:87], s[14:15], -v[14:15]
	v_add_f64 v[34:35], v[16:17], v[30:31]
	v_mul_f64 v[16:17], v[88:89], s[22:23]
	v_add_f64 v[14:15], v[14:15], v[28:29]
	v_fma_f64 v[18:19], v[86:87], s[34:35], v[16:17]
	v_fma_f64 v[16:17], v[86:87], s[34:35], -v[16:17]
	v_add_f64 v[36:37], v[18:19], v[172:173]
	v_mul_f64 v[18:19], v[88:89], s[44:45]
	v_add_f64 v[16:17], v[16:17], v[32:33]
	buffer_load_dword v32, off, s[56:59], 0 offset:432 ; 4-byte Folded Reload
	v_lshlrev_b32_sdwa v33, v107, v224 dst_sel:DWORD dst_unused:UNUSED_PAD src0_sel:DWORD src1_sel:BYTE_0
	v_fma_f64 v[20:21], v[86:87], s[16:17], v[18:19]
	v_fma_f64 v[18:19], v[86:87], s[16:17], -v[18:19]
	v_add_f64 v[28:29], v[20:21], v[212:213]
	v_mul_f64 v[20:21], v[88:89], s[20:21]
	v_add_f64 v[18:19], v[18:19], v[76:77]
	v_fma_f64 v[24:25], v[86:87], s[28:29], v[20:21]
	v_fma_f64 v[20:21], v[86:87], s[28:29], -v[20:21]
	v_add_f64 v[30:31], v[24:25], v[62:63]
	v_add_f64 v[20:21], v[20:21], v[56:57]
	buffer_load_dword v56, off, s[56:59], 0 offset:4 ; 4-byte Folded Reload
	v_fma_f64 v[24:25], v[86:87], s[24:25], v[26:27]
	v_fma_f64 v[26:27], v[86:87], s[24:25], -v[26:27]
	v_add_f64 v[24:25], v[24:25], v[80:81]
	v_add_f64 v[26:27], v[26:27], v[100:101]
	s_waitcnt vmcnt(1)
	v_and_b32_e32 v32, 0xffff, v32
	v_mad_u32_u24 v32, 0x3b8, v32, 0
	s_waitcnt vmcnt(0)
	v_add3_u32 v113, v32, v33, v56
	ds_write2_b64 v113, v[12:13], v[84:85] offset1:7
	ds_write2_b64 v113, v[94:95], v[96:97] offset0:14 offset1:21
	ds_write2_b64 v113, v[82:83], v[74:75] offset0:28 offset1:35
	;; [unrolled: 1-line block ×7, first 2 shown]
	ds_write_b64 v113, v[170:171] offset:896
	v_and_b32_e32 v12, 0xffff, v120
	v_lshlrev_b32_sdwa v13, v107, v121 dst_sel:DWORD dst_unused:UNUSED_PAD src0_sel:DWORD src1_sel:BYTE_0
	v_mad_u32_u24 v12, 0x3b8, v12, 0
	v_add3_u32 v251, v12, v13, v56
	ds_write2_b64 v251, v[22:23], v[166:167] offset1:7
	ds_write2_b64 v251, v[38:39], v[162:163] offset0:14 offset1:21
	ds_write2_b64 v251, v[34:35], v[36:37] offset0:28 offset1:35
	;; [unrolled: 1-line block ×7, first 2 shown]
	ds_write_b64 v251, v[4:5] offset:896
	s_and_saveexec_b32 s1, s0
	s_cbranch_execz .LBB0_16
; %bb.15:
	s_clause 0x3
	buffer_load_dword v4, off, s[56:59], 0 offset:40
	buffer_load_dword v5, off, s[56:59], 0 offset:44
	;; [unrolled: 1-line block ×4, first 2 shown]
	v_mov_b32_e32 v66, v126
	v_mov_b32_e32 v67, v127
	s_clause 0x1
	buffer_load_dword v126, off, s[56:59], 0 offset:256
	buffer_load_dword v127, off, s[56:59], 0 offset:260
	s_waitcnt vmcnt(2)
	v_add_f64 v[8:9], v[8:9], -v[4:5]
	s_waitcnt vmcnt(0)
	v_add_f64 v[4:5], v[126:127], v[66:67]
	v_mul_f64 v[38:39], v[8:9], s[26:27]
	v_mul_f64 v[70:71], v[8:9], s[22:23]
	v_fma_f64 v[10:11], v[4:5], s[36:37], v[38:39]
	v_fma_f64 v[38:39], v[4:5], s[36:37], -v[38:39]
	v_add_f64 v[14:15], v[233:234], v[10:11]
	s_clause 0x7
	buffer_load_dword v10, off, s[56:59], 0 offset:80
	buffer_load_dword v11, off, s[56:59], 0 offset:84
	;; [unrolled: 1-line block ×8, first 2 shown]
	v_add_f64 v[38:39], v[233:234], v[38:39]
	s_waitcnt vmcnt(4)
	v_add_f64 v[12:13], v[12:13], -v[10:11]
	s_waitcnt vmcnt(0)
	v_add_f64 v[10:11], v[102:103], v[60:61]
	v_mul_f64 v[56:57], v[12:13], s[44:45]
	v_mul_f64 v[72:73], v[12:13], s[40:41]
	v_fma_f64 v[16:17], v[10:11], s[16:17], v[56:57]
	v_fma_f64 v[18:19], v[10:11], s[28:29], v[72:73]
	v_fma_f64 v[56:57], v[10:11], s[16:17], -v[56:57]
	v_add_f64 v[16:17], v[16:17], v[14:15]
	v_fma_f64 v[14:15], v[4:5], s[34:35], v[70:71]
	v_add_f64 v[38:39], v[56:57], v[38:39]
	v_fma_f64 v[56:57], v[4:5], s[34:35], -v[70:71]
	v_add_f64 v[14:15], v[233:234], v[14:15]
	v_add_f64 v[56:57], v[233:234], v[56:57]
	;; [unrolled: 1-line block ×3, first 2 shown]
	s_clause 0x7
	buffer_load_dword v14, off, s[56:59], 0 offset:64
	buffer_load_dword v15, off, s[56:59], 0 offset:68
	buffer_load_dword v20, off, s[56:59], 0 offset:120
	buffer_load_dword v21, off, s[56:59], 0 offset:124
	buffer_load_dword v110, off, s[56:59], 0 offset:160
	buffer_load_dword v111, off, s[56:59], 0 offset:164
	buffer_load_dword v220, off, s[56:59], 0 offset:240
	buffer_load_dword v221, off, s[56:59], 0 offset:244
	s_waitcnt vmcnt(4)
	v_add_f64 v[20:21], v[14:15], -v[20:21]
	s_waitcnt vmcnt(0)
	v_add_f64 v[14:15], v[110:111], v[220:221]
	v_mul_f64 v[74:75], v[20:21], s[18:19]
	v_mul_f64 v[82:83], v[20:21], s[4:5]
	v_fma_f64 v[22:23], v[14:15], s[24:25], v[74:75]
	v_add_f64 v[22:23], v[22:23], v[16:17]
	v_fma_f64 v[16:17], v[14:15], s[6:7], v[82:83]
	v_add_f64 v[24:25], v[16:17], v[18:19]
	s_clause 0x7
	buffer_load_dword v16, off, s[56:59], 0 offset:56
	buffer_load_dword v17, off, s[56:59], 0 offset:60
	buffer_load_dword v18, off, s[56:59], 0 offset:152
	buffer_load_dword v19, off, s[56:59], 0 offset:156
	buffer_load_dword v122, off, s[56:59], 0 offset:168
	buffer_load_dword v123, off, s[56:59], 0 offset:172
	buffer_load_dword v210, off, s[56:59], 0 offset:232
	buffer_load_dword v211, off, s[56:59], 0 offset:236
	s_waitcnt vmcnt(4)
	v_add_f64 v[18:19], v[16:17], -v[18:19]
	s_waitcnt vmcnt(0)
	v_add_f64 v[16:17], v[122:123], v[210:211]
	v_mul_f64 v[84:85], v[18:19], s[52:53]
	v_mul_f64 v[94:95], v[18:19], s[26:27]
	v_fma_f64 v[26:27], v[16:17], s[34:35], v[84:85]
	v_add_f64 v[26:27], v[26:27], v[22:23]
	v_fma_f64 v[22:23], v[16:17], s[36:37], v[94:95]
	v_add_f64 v[28:29], v[22:23], v[24:25]
	;; [unrolled: 19-line block ×5, first 2 shown]
	s_clause 0x7
	buffer_load_dword v34, off, s[56:59], 0 offset:24
	buffer_load_dword v35, off, s[56:59], 0 offset:28
	;; [unrolled: 1-line block ×8, first 2 shown]
	s_waitcnt vmcnt(4)
	v_add_f64 v[36:37], v[34:35], -v[36:37]
	s_waitcnt vmcnt(0)
	v_add_f64 v[34:35], v[92:93], v[98:99]
	v_mul_f64 v[182:183], v[36:37], s[20:21]
	v_mul_f64 v[186:187], v[36:37], s[44:45]
	v_fma_f64 v[80:81], v[34:35], s[28:29], v[182:183]
	v_add_f64 v[194:195], v[80:81], v[62:63]
	v_fma_f64 v[62:63], v[34:35], s[16:17], v[186:187]
	v_mul_f64 v[80:81], v[12:13], s[46:47]
	v_add_f64 v[230:231], v[62:63], v[76:77]
	buffer_load_dword v63, off, s[56:59], 0 offset:4 ; 4-byte Folded Reload
	v_lshlrev_b32_sdwa v62, v107, v112 dst_sel:DWORD dst_unused:UNUSED_PAD src0_sel:DWORD src1_sel:BYTE_0
	v_fma_f64 v[86:87], v[10:11], s[6:7], -v[80:81]
	v_fma_f64 v[80:81], v[10:11], s[6:7], v[80:81]
	s_waitcnt vmcnt(0)
	v_add3_u32 v78, 0, v62, v63
	v_mul_f64 v[62:63], v[8:9], s[30:31]
	v_add_nc_u32_e32 v79, 0x1000, v78
	ds_write2_b64 v79, v[230:231], v[194:195] offset0:6 offset1:13
	v_fma_f64 v[76:77], v[4:5], s[38:39], -v[62:63]
	v_fma_f64 v[62:63], v[4:5], s[38:39], v[62:63]
	v_add_f64 v[76:77], v[233:234], v[76:77]
	v_add_f64 v[62:63], v[233:234], v[62:63]
	;; [unrolled: 1-line block ×4, first 2 shown]
	v_mul_f64 v[80:81], v[20:21], s[26:27]
	v_fma_f64 v[86:87], v[14:15], s[36:37], -v[80:81]
	v_fma_f64 v[80:81], v[14:15], s[36:37], v[80:81]
	v_add_f64 v[76:77], v[86:87], v[76:77]
	v_add_f64 v[62:63], v[80:81], v[62:63]
	v_mul_f64 v[80:81], v[18:19], s[50:51]
	v_fma_f64 v[86:87], v[16:17], s[14:15], -v[80:81]
	v_fma_f64 v[80:81], v[16:17], s[14:15], v[80:81]
	v_add_f64 v[76:77], v[86:87], v[76:77]
	v_add_f64 v[62:63], v[80:81], v[62:63]
	;; [unrolled: 5-line block ×6, first 2 shown]
	ds_write2_b64 v79, v[62:63], v[76:77] offset0:20 offset1:27
	v_fma_f64 v[62:63], v[10:11], s[28:29], -v[72:73]
	v_add_f64 v[56:57], v[62:63], v[56:57]
	v_fma_f64 v[62:63], v[14:15], s[24:25], -v[74:75]
	v_mul_f64 v[74:75], v[12:13], s[30:31]
	v_add_f64 v[38:39], v[62:63], v[38:39]
	v_fma_f64 v[62:63], v[14:15], s[6:7], -v[82:83]
	v_fma_f64 v[76:77], v[10:11], s[38:39], -v[74:75]
	v_add_f64 v[56:57], v[62:63], v[56:57]
	v_fma_f64 v[62:63], v[16:17], s[34:35], -v[84:85]
	v_add_f64 v[38:39], v[62:63], v[38:39]
	;; [unrolled: 2-line block ×7, first 2 shown]
	v_fma_f64 v[62:63], v[30:31], s[14:15], -v[174:175]
	v_mul_f64 v[174:175], v[12:13], s[18:19]
	v_add_f64 v[38:39], v[62:63], v[38:39]
	v_fma_f64 v[62:63], v[30:31], s[38:39], -v[178:179]
	v_fma_f64 v[178:179], v[10:11], s[24:25], -v[174:175]
	v_add_f64 v[56:57], v[62:63], v[56:57]
	v_fma_f64 v[62:63], v[34:35], s[28:29], -v[182:183]
	v_add_f64 v[38:39], v[62:63], v[38:39]
	;; [unrolled: 2-line block ×3, first 2 shown]
	v_mul_f64 v[62:63], v[12:13], s[42:43]
	ds_write2_b64 v79, v[38:39], v[56:57] offset0:34 offset1:41
	v_mul_f64 v[38:39], v[8:9], s[20:21]
	v_fma_f64 v[70:71], v[10:11], s[36:37], -v[62:63]
	v_fma_f64 v[56:57], v[4:5], s[28:29], -v[38:39]
	v_fma_f64 v[38:39], v[4:5], s[28:29], v[38:39]
	v_add_f64 v[56:57], v[233:234], v[56:57]
	v_add_f64 v[38:39], v[233:234], v[38:39]
	;; [unrolled: 1-line block ×3, first 2 shown]
	v_mul_f64 v[70:71], v[8:9], s[18:19]
	v_fma_f64 v[72:73], v[4:5], s[24:25], -v[70:71]
	v_add_f64 v[72:73], v[233:234], v[72:73]
	v_add_f64 v[72:73], v[76:77], v[72:73]
	v_mul_f64 v[76:77], v[20:21], s[50:51]
	v_fma_f64 v[80:81], v[14:15], s[14:15], -v[76:77]
	v_add_f64 v[56:57], v[80:81], v[56:57]
	v_mul_f64 v[80:81], v[20:21], s[40:41]
	v_fma_f64 v[82:83], v[14:15], s[28:29], -v[80:81]
	;; [unrolled: 3-line block ×12, first 2 shown]
	v_add_f64 v[72:73], v[166:167], v[72:73]
	v_mul_f64 v[166:167], v[12:13], s[22:23]
	v_mul_f64 v[12:13], v[12:13], s[10:11]
	ds_write2_b64 v79, v[56:57], v[72:73] offset0:48 offset1:55
	v_mul_f64 v[56:57], v[8:9], s[12:13]
	v_fma_f64 v[170:171], v[10:11], s[34:35], -v[166:167]
	v_fma_f64 v[72:73], v[4:5], s[16:17], -v[56:57]
	v_fma_f64 v[56:57], v[4:5], s[16:17], v[56:57]
	v_add_f64 v[72:73], v[233:234], v[72:73]
	v_add_f64 v[56:57], v[233:234], v[56:57]
	;; [unrolled: 1-line block ×3, first 2 shown]
	v_mul_f64 v[170:171], v[8:9], s[10:11]
	v_mul_f64 v[8:9], v[8:9], s[4:5]
	v_fma_f64 v[172:173], v[4:5], s[14:15], -v[170:171]
	v_add_f64 v[172:173], v[233:234], v[172:173]
	v_add_f64 v[172:173], v[178:179], v[172:173]
	v_mul_f64 v[178:179], v[20:21], s[48:49]
	v_fma_f64 v[182:183], v[14:15], s[38:39], -v[178:179]
	v_add_f64 v[72:73], v[182:183], v[72:73]
	v_mul_f64 v[182:183], v[20:21], s[22:23]
	v_fma_f64 v[186:187], v[14:15], s[34:35], -v[182:183]
	;; [unrolled: 3-line block ×8, first 2 shown]
	v_fma_f64 v[108:109], v[26:27], s[28:29], v[108:109]
	v_add_f64 v[114:115], v[114:115], v[172:173]
	v_mul_f64 v[172:173], v[32:33], s[18:19]
	v_fma_f64 v[90:91], v[30:31], s[24:25], -v[172:173]
	v_add_f64 v[72:73], v[90:91], v[72:73]
	v_mul_f64 v[90:91], v[32:33], s[44:45]
	v_fma_f64 v[116:117], v[30:31], s[16:17], -v[90:91]
	v_fma_f64 v[90:91], v[30:31], s[16:17], v[90:91]
	v_add_f64 v[114:115], v[116:117], v[114:115]
	v_mul_f64 v[116:117], v[36:37], s[26:27]
	v_fma_f64 v[104:105], v[34:35], s[36:37], -v[116:117]
	v_add_f64 v[72:73], v[104:105], v[72:73]
	v_mul_f64 v[104:105], v[36:37], s[46:47]
	v_fma_f64 v[118:119], v[34:35], s[6:7], -v[104:105]
	v_add_f64 v[114:115], v[118:119], v[114:115]
	ds_write2_b64 v79, v[72:73], v[114:115] offset0:62 offset1:69
	v_fma_f64 v[72:73], v[10:11], s[34:35], v[166:167]
	v_fma_f64 v[114:115], v[10:11], s[24:25], v[174:175]
	v_add_nc_u32_e32 v79, 0x800, v78
	v_add_f64 v[56:57], v[72:73], v[56:57]
	v_fma_f64 v[72:73], v[14:15], s[38:39], v[178:179]
	v_add_f64 v[56:57], v[72:73], v[56:57]
	v_fma_f64 v[72:73], v[16:17], s[28:29], v[186:187]
	;; [unrolled: 2-line block ×7, first 2 shown]
	v_add_f64 v[72:73], v[233:234], v[72:73]
	v_add_f64 v[72:73], v[114:115], v[72:73]
	v_fma_f64 v[114:115], v[14:15], s[34:35], v[182:183]
	v_add_f64 v[72:73], v[114:115], v[72:73]
	v_fma_f64 v[114:115], v[16:17], s[38:39], v[194:195]
	;; [unrolled: 2-line block ×3, first 2 shown]
	v_add_f64 v[72:73], v[114:115], v[72:73]
	v_add_f64 v[72:73], v[108:109], v[72:73]
	;; [unrolled: 1-line block ×3, first 2 shown]
	v_fma_f64 v[90:91], v[34:35], s[6:7], v[104:105]
	v_add_f64 v[72:73], v[90:91], v[72:73]
	ds_write2_b64 v79, v[72:73], v[56:57] offset0:234 offset1:241
	v_fma_f64 v[56:57], v[10:11], s[36:37], v[62:63]
	v_fma_f64 v[62:63], v[10:11], s[38:39], v[74:75]
	v_add_f64 v[38:39], v[56:57], v[38:39]
	v_fma_f64 v[56:57], v[14:15], s[14:15], v[76:77]
	v_add_f64 v[38:39], v[56:57], v[38:39]
	;; [unrolled: 2-line block ×8, first 2 shown]
	v_add_f64 v[56:57], v[62:63], v[56:57]
	v_fma_f64 v[62:63], v[14:15], s[28:29], v[80:81]
	v_add_f64 v[56:57], v[62:63], v[56:57]
	v_fma_f64 v[62:63], v[16:17], s[6:7], v[84:85]
	;; [unrolled: 2-line block ×6, first 2 shown]
	v_add_f64 v[56:57], v[62:63], v[56:57]
	ds_write2_b64 v79, v[56:57], v[38:39] offset0:248 offset1:255
	v_fma_f64 v[38:39], v[4:5], s[6:7], v[8:9]
	v_fma_f64 v[4:5], v[4:5], s[6:7], -v[8:9]
	v_fma_f64 v[56:57], v[10:11], s[14:15], v[12:13]
	v_mul_f64 v[8:9], v[20:21], s[12:13]
	v_fma_f64 v[10:11], v[10:11], s[14:15], -v[12:13]
	v_add_f64 v[38:39], v[233:234], v[38:39]
	v_add_f64 v[4:5], v[233:234], v[4:5]
	v_fma_f64 v[20:21], v[14:15], s[16:17], v[8:9]
	v_fma_f64 v[8:9], v[14:15], s[16:17], -v[8:9]
	v_add_f64 v[38:39], v[56:57], v[38:39]
	v_add_f64 v[4:5], v[10:11], v[4:5]
	v_mul_f64 v[10:11], v[18:19], s[18:19]
	v_add_f64 v[20:21], v[20:21], v[38:39]
	v_add_f64 v[4:5], v[8:9], v[4:5]
	v_fma_f64 v[12:13], v[16:17], s[24:25], v[10:11]
	v_fma_f64 v[10:11], v[16:17], s[24:25], -v[10:11]
	v_mul_f64 v[8:9], v[24:25], s[20:21]
	v_add_f64 v[12:13], v[12:13], v[20:21]
	v_add_f64 v[4:5], v[10:11], v[4:5]
	v_fma_f64 v[14:15], v[22:23], s[28:29], v[8:9]
	v_fma_f64 v[8:9], v[22:23], s[28:29], -v[8:9]
	v_mul_f64 v[10:11], v[28:29], s[22:23]
	v_add_f64 v[12:13], v[14:15], v[12:13]
	v_add_f64 v[4:5], v[8:9], v[4:5]
	v_fma_f64 v[14:15], v[26:27], s[34:35], v[10:11]
	v_fma_f64 v[10:11], v[26:27], s[34:35], -v[10:11]
	v_mul_f64 v[8:9], v[32:33], s[26:27]
	v_add_f64 v[12:13], v[14:15], v[12:13]
	v_add_f64 v[4:5], v[10:11], v[4:5]
	v_fma_f64 v[14:15], v[30:31], s[36:37], v[8:9]
	v_fma_f64 v[8:9], v[30:31], s[36:37], -v[8:9]
	v_mul_f64 v[10:11], v[36:37], s[30:31]
	v_add_f64 v[12:13], v[14:15], v[12:13]
	v_add_f64 v[4:5], v[8:9], v[4:5]
	;; [unrolled: 1-line block ×3, first 2 shown]
	v_fma_f64 v[14:15], v[34:35], s[38:39], v[10:11]
	v_fma_f64 v[10:11], v[34:35], s[38:39], -v[10:11]
	v_mov_b32_e32 v127, v67
	v_mov_b32_e32 v126, v66
	v_add_f64 v[8:9], v[8:9], v[102:103]
	v_add_f64 v[12:13], v[14:15], v[12:13]
	;; [unrolled: 1-line block ×17, first 2 shown]
	ds_write2_b64 v79, v[8:9], v[12:13] offset0:220 offset1:227
	ds_write_b64 v78, v[4:5] offset:4704
.LBB0_16:
	s_or_b32 exec_lo, exec_lo, s1
	s_clause 0xb
	buffer_load_dword v42, off, s[56:59], 0 offset:352
	buffer_load_dword v43, off, s[56:59], 0 offset:356
	;; [unrolled: 1-line block ×12, first 2 shown]
	v_add_f64 v[4:5], v[198:199], v[222:223]
	v_add_f64 v[14:15], v[241:242], -v[247:248]
	v_add_f64 v[22:23], v[68:69], -v[243:244]
	v_add_f64 v[24:25], v[226:227], v[188:189]
	v_mov_b32_e32 v197, v51
	v_mov_b32_e32 v196, v50
	v_add_f64 v[4:5], v[4:5], v[239:240]
	s_waitcnt vmcnt(10)
	v_add_f64 v[8:9], v[222:223], v[42:43]
	s_waitcnt vmcnt(8)
	v_add_f64 v[10:11], v[239:240], v[46:47]
	s_waitcnt vmcnt(6)
	v_add_f64 v[12:13], v[12:13], -v[249:250]
	s_waitcnt vmcnt(4)
	v_add_f64 v[4:5], v[4:5], v[66:67]
	v_add_f64 v[16:17], v[66:67], v[140:141]
	s_waitcnt vmcnt(0)
	v_add_f64 v[20:21], v[60:61], v[54:55]
	s_clause 0x1
	buffer_load_dword v66, off, s[56:59], 0 offset:368
	buffer_load_dword v67, off, s[56:59], 0 offset:372
	v_add_f64 v[18:19], v[18:19], -v[245:246]
	v_mul_f64 v[222:223], v[24:25], s[38:39]
	v_mul_f64 v[26:27], v[8:9], s[6:7]
	;; [unrolled: 1-line block ×4, first 2 shown]
	v_add_f64 v[4:5], v[4:5], v[60:61]
	s_clause 0x1
	buffer_load_dword v60, off, s[56:59], 0 offset:376
	buffer_load_dword v61, off, s[56:59], 0 offset:380
	v_mul_f64 v[32:33], v[8:9], s[24:25]
	v_mul_f64 v[34:35], v[8:9], s[28:29]
	;; [unrolled: 1-line block ×17, first 2 shown]
	v_fma_f64 v[100:101], v[12:13], s[46:47], v[26:27]
	v_fma_f64 v[26:27], v[12:13], s[4:5], v[26:27]
	;; [unrolled: 1-line block ×3, first 2 shown]
	v_add_f64 v[4:5], v[4:5], v[226:227]
	v_fma_f64 v[28:29], v[12:13], s[10:11], v[28:29]
	v_fma_f64 v[106:107], v[12:13], s[44:45], v[30:31]
	;; [unrolled: 1-line block ×4, first 2 shown]
	v_mul_f64 v[90:91], v[16:17], s[14:15]
	v_mul_f64 v[94:95], v[16:17], s[6:7]
	;; [unrolled: 1-line block ×3, first 2 shown]
	v_fma_f64 v[32:33], v[12:13], s[18:19], v[32:33]
	v_fma_f64 v[114:115], v[12:13], s[40:41], v[34:35]
	v_fma_f64 v[34:35], v[12:13], s[20:21], v[34:35]
	v_fma_f64 v[116:117], v[12:13], s[52:53], v[36:37]
	v_fma_f64 v[36:37], v[12:13], s[22:23], v[36:37]
	v_fma_f64 v[118:119], v[12:13], s[42:43], v[38:39]
	v_fma_f64 v[38:39], v[12:13], s[26:27], v[38:39]
	v_fma_f64 v[120:121], v[12:13], s[48:49], v[8:9]
	v_fma_f64 v[8:9], v[12:13], s[30:31], v[8:9]
	v_fma_f64 v[12:13], v[14:15], s[50:51], v[56:57]
	v_fma_f64 v[56:57], v[14:15], s[10:11], v[56:57]
	v_fma_f64 v[162:163], v[14:15], s[54:55], v[62:63]
	v_fma_f64 v[62:63], v[14:15], s[18:19], v[62:63]
	v_fma_f64 v[166:167], v[14:15], s[52:53], v[70:71]
	v_add_f64 v[4:5], v[4:5], v[164:165]
	v_fma_f64 v[70:71], v[14:15], s[22:23], v[70:71]
	v_fma_f64 v[170:171], v[14:15], s[48:49], v[72:73]
	v_add_f64 v[26:27], v[198:199], v[26:27]
	v_add_f64 v[28:29], v[198:199], v[28:29]
	v_add_f64 v[106:107], v[198:199], v[106:107]
	v_add_f64 v[30:31], v[198:199], v[30:31]
	v_add_f64 v[108:109], v[198:199], v[108:109]
	v_mul_f64 v[16:17], v[16:17], s[36:37]
	v_fma_f64 v[72:73], v[14:15], s[30:31], v[72:73]
	v_fma_f64 v[172:173], v[14:15], s[26:27], v[74:75]
	;; [unrolled: 1-line block ×6, first 2 shown]
	v_add_f64 v[100:101], v[198:199], v[100:101]
	v_fma_f64 v[80:81], v[14:15], s[44:45], v[80:81]
	v_fma_f64 v[182:183], v[14:15], s[4:5], v[10:11]
	;; [unrolled: 1-line block ×5, first 2 shown]
	v_add_f64 v[32:33], v[198:199], v[32:33]
	v_add_f64 v[4:5], v[4:5], v[146:147]
	;; [unrolled: 1-line block ×10, first 2 shown]
	v_fma_f64 v[166:167], v[18:19], s[42:43], v[16:17]
	v_fma_f64 v[170:171], v[18:19], s[26:27], v[16:17]
	v_mul_f64 v[16:17], v[20:21], s[14:15]
	v_fma_f64 v[186:187], v[18:19], s[30:31], v[86:87]
	v_fma_f64 v[106:107], v[18:19], s[10:11], v[90:91]
	;; [unrolled: 1-line block ×3, first 2 shown]
	v_add_f64 v[12:13], v[12:13], v[100:101]
	v_fma_f64 v[100:101], v[18:19], s[52:53], v[84:85]
	v_fma_f64 v[84:85], v[18:19], s[22:23], v[84:85]
	v_add_f64 v[8:9], v[198:199], v[8:9]
	v_add_f64 v[34:35], v[198:199], v[34:35]
	;; [unrolled: 1-line block ×9, first 2 shown]
	v_fma_f64 v[82:83], v[18:19], s[48:49], v[86:87]
	v_fma_f64 v[86:87], v[18:19], s[20:21], v[88:89]
	;; [unrolled: 1-line block ×7, first 2 shown]
	v_add_f64 v[18:19], v[176:177], -v[218:219]
	v_fma_f64 v[224:225], v[22:23], s[10:11], v[16:17]
	v_fma_f64 v[226:227], v[22:23], s[50:51], v[16:17]
	v_mul_f64 v[16:17], v[24:25], s[24:25]
	v_add_f64 v[36:37], v[198:199], v[36:37]
	v_add_f64 v[118:119], v[198:199], v[118:119]
	;; [unrolled: 1-line block ×4, first 2 shown]
	v_mul_f64 v[12:13], v[20:21], s[38:39]
	v_add_f64 v[34:35], v[74:75], v[34:35]
	v_add_f64 v[4:5], v[4:5], v[6:7]
	;; [unrolled: 1-line block ×3, first 2 shown]
	v_mul_f64 v[14:15], v[20:21], s[28:29]
	v_add_f64 v[104:105], v[198:199], v[104:105]
	v_mul_f64 v[56:57], v[20:21], s[24:25]
	v_mul_f64 v[108:109], v[20:21], s[6:7]
	;; [unrolled: 1-line block ×5, first 2 shown]
	v_add_f64 v[28:29], v[84:85], v[28:29]
	v_add_f64 v[62:63], v[186:187], v[62:63]
	v_add_f64 v[30:31], v[82:83], v[30:31]
	v_fma_f64 v[249:250], v[18:19], s[48:49], v[222:223]
	v_fma_f64 v[222:223], v[18:19], s[30:31], v[222:223]
	v_add_f64 v[70:71], v[86:87], v[70:71]
	v_fma_f64 v[252:253], v[18:19], s[18:19], v[16:17]
	v_fma_f64 v[92:93], v[18:19], s[54:55], v[16:17]
	v_add_f64 v[16:17], v[146:147], v[148:149]
	v_add_f64 v[36:37], v[76:77], v[36:37]
	;; [unrolled: 1-line block ×3, first 2 shown]
	v_fma_f64 v[174:175], v[22:23], s[48:49], v[12:13]
	v_fma_f64 v[176:177], v[22:23], s[30:31], v[12:13]
	v_add_f64 v[4:5], v[4:5], v[148:149]
	v_add_f64 v[148:149], v[192:193], -v[152:153]
	s_clause 0x1
	buffer_load_dword v192, off, s[56:59], 0 offset:328
	buffer_load_dword v193, off, s[56:59], 0 offset:332
	v_fma_f64 v[178:179], v[22:23], s[20:21], v[14:15]
	v_fma_f64 v[182:183], v[22:23], s[40:41], v[14:15]
	v_mul_f64 v[14:15], v[24:25], s[14:15]
	v_add_f64 v[104:105], v[162:163], v[104:105]
	v_mul_f64 v[118:119], v[20:21], s[36:37]
	v_mul_f64 v[162:163], v[20:21], s[34:35]
	v_fma_f64 v[20:21], v[22:23], s[54:55], v[56:57]
	v_fma_f64 v[56:57], v[22:23], s[18:19], v[56:57]
	;; [unrolled: 1-line block ×10, first 2 shown]
	v_add_f64 v[72:73], v[106:107], v[72:73]
	v_add_f64 v[38:39], v[96:97], v[38:39]
	;; [unrolled: 1-line block ×4, first 2 shown]
	v_mul_f64 v[84:85], v[16:17], s[16:17]
	v_add_f64 v[34:35], v[90:91], v[34:35]
	v_add_f64 v[74:75], v[114:115], v[74:75]
	;; [unrolled: 1-line block ×3, first 2 shown]
	v_fma_f64 v[237:238], v[18:19], s[10:11], v[14:15]
	v_fma_f64 v[241:242], v[18:19], s[50:51], v[14:15]
	;; [unrolled: 1-line block ×6, first 2 shown]
	v_mul_f64 v[22:23], v[24:25], s[6:7]
	v_add_f64 v[26:27], v[56:57], v[26:27]
	v_add_f64 v[56:57], v[178:179], v[62:63]
	;; [unrolled: 1-line block ×10, first 2 shown]
	v_mul_f64 v[82:83], v[16:17], s[6:7]
	v_fma_f64 v[180:181], v[148:149], s[12:13], v[84:85]
	v_add_f64 v[34:35], v[116:117], v[34:35]
	v_mul_f64 v[86:87], v[16:17], s[38:39]
	v_mul_f64 v[152:153], v[16:17], s[28:29]
	v_fma_f64 v[186:187], v[148:149], s[44:45], v[84:85]
	v_add_f64 v[30:31], v[241:242], v[30:31]
	v_add_f64 v[72:73], v[212:213], v[74:75]
	v_mul_f64 v[88:89], v[16:17], s[14:15]
	v_add_f64 v[38:39], v[162:163], v[38:39]
	v_fma_f64 v[102:103], v[18:19], s[46:47], v[22:23]
	v_fma_f64 v[122:123], v[18:19], s[4:5], v[22:23]
	v_add_f64 v[26:27], v[172:173], v[26:27]
	v_add_f64 v[56:57], v[237:238], v[56:57]
	;; [unrolled: 1-line block ×9, first 2 shown]
	v_fma_f64 v[108:109], v[148:149], s[4:5], v[82:83]
	v_add_f64 v[34:35], v[222:223], v[34:35]
	v_fma_f64 v[76:77], v[148:149], s[48:49], v[86:87]
	v_fma_f64 v[86:87], v[148:149], s[30:31], v[86:87]
	;; [unrolled: 1-line block ×4, first 2 shown]
	v_add_f64 v[38:39], v[122:123], v[38:39]
	v_add_f64 v[84:85], v[102:103], v[74:75]
	;; [unrolled: 1-line block ×3, first 2 shown]
	v_fma_f64 v[74:75], v[148:149], s[20:21], v[152:153]
	v_add_f64 v[32:33], v[218:219], v[32:33]
	s_waitcnt vmcnt(4)
	v_add_f64 v[12:13], v[164:165], v[66:67]
	v_add_f64 v[4:5], v[4:5], v[66:67]
	v_mul_f64 v[164:165], v[24:25], s[36:37]
	v_mul_f64 v[24:25], v[24:25], s[34:35]
	s_waitcnt vmcnt(2)
	v_add_f64 v[168:169], v[60:61], -v[216:217]
	s_clause 0x5
	buffer_load_dword v60, off, s[56:59], 0 offset:296
	buffer_load_dword v61, off, s[56:59], 0 offset:300
	;; [unrolled: 1-line block ×6, first 2 shown]
	v_mul_f64 v[216:217], v[12:13], s[34:35]
	v_mul_f64 v[233:234], v[12:13], s[28:29]
	;; [unrolled: 1-line block ×8, first 2 shown]
	v_fma_f64 v[230:231], v[18:19], s[26:27], v[164:165]
	v_fma_f64 v[164:165], v[18:19], s[42:43], v[164:165]
	;; [unrolled: 1-line block ×4, first 2 shown]
	v_add_f64 v[18:19], v[184:185], v[6:7]
	v_add_f64 v[6:7], v[100:101], v[104:105]
	v_mul_f64 v[100:101], v[16:17], s[36:37]
	v_mul_f64 v[104:105], v[16:17], s[24:25]
	v_add_f64 v[4:5], v[4:5], v[188:189]
	v_fma_f64 v[78:79], v[168:169], s[52:53], v[216:217]
	v_fma_f64 v[216:217], v[168:169], s[22:23], v[216:217]
	;; [unrolled: 1-line block ×16, first 2 shown]
	v_add_f64 v[12:13], v[128:129], -v[2:3]
	v_add_f64 v[2:3], v[0:1], v[190:191]
	v_add_f64 v[14:15], v[190:191], v[40:41]
	v_mov_b32_e32 v191, v157
	v_mov_b32_e32 v190, v156
	v_add_f64 v[6:7], v[174:175], v[6:7]
	v_add_f64 v[28:29], v[164:165], v[28:29]
	v_mul_f64 v[106:107], v[18:19], s[38:39]
	v_mul_f64 v[90:91], v[18:19], s[6:7]
	;; [unrolled: 1-line block ×3, first 2 shown]
	v_fma_f64 v[120:121], v[148:149], s[42:43], v[100:101]
	v_fma_f64 v[100:101], v[148:149], s[26:27], v[100:101]
	;; [unrolled: 1-line block ×4, first 2 shown]
	v_add_f64 v[8:9], v[24:25], v[8:9]
	v_add_f64 v[24:25], v[216:217], v[26:27]
	;; [unrolled: 1-line block ×5, first 2 shown]
	v_mul_f64 v[128:129], v[16:17], s[34:35]
	v_add_f64 v[4:5], v[4:5], v[54:55]
	v_mul_f64 v[22:23], v[18:19], s[34:35]
	v_fma_f64 v[54:55], v[148:149], s[46:47], v[82:83]
	v_add_f64 v[2:3], v[2:3], v[196:197]
	v_add_f64 v[80:81], v[98:99], v[80:81]
	;; [unrolled: 1-line block ×3, first 2 shown]
	v_mul_f64 v[184:185], v[18:19], s[14:15]
	v_add_f64 v[6:7], v[230:231], v[6:7]
	v_add_f64 v[26:27], v[233:234], v[28:29]
	;; [unrolled: 1-line block ×3, first 2 shown]
	v_fma_f64 v[94:95], v[12:13], s[30:31], v[106:107]
	v_fma_f64 v[96:97], v[12:13], s[4:5], v[90:91]
	;; [unrolled: 1-line block ×3, first 2 shown]
	v_add_f64 v[90:91], v[247:248], v[38:39]
	v_fma_f64 v[164:165], v[12:13], s[42:43], v[114:115]
	v_add_f64 v[82:83], v[252:253], v[72:73]
	v_add_f64 v[178:179], v[168:169], v[8:9]
	;; [unrolled: 1-line block ×4, first 2 shown]
	v_fma_f64 v[168:169], v[12:13], s[26:27], v[114:115]
	v_fma_f64 v[72:73], v[148:149], s[40:41], v[152:153]
	;; [unrolled: 1-line block ×4, first 2 shown]
	v_add_f64 v[4:5], v[4:5], v[140:141]
	v_add_f64 v[62:63], v[206:207], v[62:63]
	;; [unrolled: 1-line block ×5, first 2 shown]
	v_mul_f64 v[16:17], v[18:19], s[16:17]
	v_add_f64 v[6:7], v[200:201], v[6:7]
	v_add_f64 v[172:173], v[186:187], v[26:27]
	;; [unrolled: 1-line block ×5, first 2 shown]
	v_mul_f64 v[54:55], v[18:19], s[28:29]
	v_add_f64 v[84:85], v[120:121], v[10:11]
	v_mul_f64 v[18:19], v[18:19], s[24:25]
	v_add_f64 v[92:93], v[210:211], v[82:83]
	v_fma_f64 v[82:83], v[12:13], s[48:49], v[106:107]
	v_add_f64 v[156:157], v[94:95], v[174:175]
	v_add_f64 v[10:11], v[88:89], v[90:91]
	;; [unrolled: 1-line block ×4, first 2 shown]
	v_fma_f64 v[32:33], v[12:13], s[52:53], v[22:23]
	v_add_f64 v[30:31], v[20:21], v[62:63]
	v_add_f64 v[24:25], v[108:109], v[34:35]
	;; [unrolled: 1-line block ×3, first 2 shown]
	v_fma_f64 v[34:35], v[12:13], s[10:11], v[184:185]
	v_add_f64 v[170:171], v[180:181], v[6:7]
	v_fma_f64 v[36:37], v[12:13], s[50:51], v[184:185]
	v_mul_f64 v[62:63], v[14:15], s[16:17]
	v_mul_f64 v[6:7], v[14:15], s[6:7]
	v_add_f64 v[8:9], v[50:51], v[98:99]
	v_mul_f64 v[50:51], v[14:15], s[14:15]
	v_add_f64 v[20:21], v[76:77], v[92:93]
	v_add_f64 v[84:85], v[82:83], v[84:85]
	;; [unrolled: 1-line block ×3, first 2 shown]
	v_fma_f64 v[42:43], v[12:13], s[22:23], v[22:23]
	v_add_f64 v[22:23], v[72:73], v[176:177]
	v_add_f64 v[72:73], v[74:75], v[178:179]
	s_waitcnt vmcnt(6)
	v_add_f64 v[2:3], v[2:3], v[192:193]
	v_add_f64 v[178:179], v[32:33], v[26:27]
	;; [unrolled: 1-line block ×6, first 2 shown]
	v_fma_f64 v[46:47], v[12:13], s[12:13], v[16:17]
	v_mul_f64 v[56:57], v[14:15], s[24:25]
	v_add_f64 v[176:177], v[34:35], v[30:31]
	v_fma_f64 v[16:17], v[12:13], s[44:45], v[16:17]
	v_add_f64 v[168:169], v[42:43], v[24:25]
	v_mul_f64 v[24:25], v[14:15], s[34:35]
	v_fma_f64 v[42:43], v[12:13], s[20:21], v[54:55]
	v_mul_f64 v[80:81], v[26:27], s[34:35]
	v_add_f64 v[174:175], v[46:47], v[20:21]
	v_mul_f64 v[74:75], v[26:27], s[14:15]
	v_mul_f64 v[78:79], v[26:27], s[24:25]
	;; [unrolled: 1-line block ×5, first 2 shown]
	v_add_f64 v[180:181], v[42:43], v[10:11]
	s_waitcnt vmcnt(4)
	v_add_f64 v[2:3], v[2:3], v[60:61]
	s_waitcnt vmcnt(2)
	v_add_f64 v[2:3], v[2:3], v[132:133]
	v_add_f64 v[2:3], v[2:3], v[124:125]
	;; [unrolled: 1-line block ×3, first 2 shown]
	s_waitcnt vmcnt(0)
	v_add_f64 v[2:3], v[2:3], v[66:67]
	v_add_f64 v[2:3], v[2:3], v[190:191]
	;; [unrolled: 1-line block ×9, first 2 shown]
	s_clause 0x5
	buffer_load_dword v2, off, s[56:59], 0 offset:344
	buffer_load_dword v3, off, s[56:59], 0 offset:348
	;; [unrolled: 1-line block ×6, first 2 shown]
	v_add_f64 v[48:49], v[60:61], v[48:49]
	v_add_f64 v[60:61], v[214:215], -v[138:139]
	v_add_f64 v[30:31], v[38:39], v[44:45]
	v_mul_f64 v[38:39], v[14:15], s[36:37]
	v_add_f64 v[44:45], v[192:193], v[44:45]
	v_mul_f64 v[108:109], v[44:45], s[16:17]
	s_waitcnt vmcnt(4)
	v_add_f64 v[2:3], v[2:3], -v[160:161]
	v_add_f64 v[160:161], v[166:167], v[172:173]
	v_add_f64 v[166:167], v[36:37], v[28:29]
	v_mul_f64 v[28:29], v[14:15], s[28:29]
	v_fma_f64 v[36:37], v[12:13], s[40:41], v[54:55]
	v_mul_f64 v[14:15], v[14:15], s[38:39]
	s_waitcnt vmcnt(2)
	v_add_f64 v[70:71], v[70:71], -v[154:155]
	s_waitcnt vmcnt(0)
	v_add_f64 v[106:107], v[106:107], -v[150:151]
	v_fma_f64 v[54:55], v[2:3], s[12:13], v[62:63]
	v_fma_f64 v[32:33], v[2:3], s[46:47], v[6:7]
	;; [unrolled: 1-line block ×9, first 2 shown]
	v_add_f64 v[18:19], v[30:31], v[158:159]
	v_fma_f64 v[30:31], v[2:3], s[18:19], v[56:57]
	v_fma_f64 v[56:57], v[2:3], s[40:41], v[28:29]
	;; [unrolled: 1-line block ×9, first 2 shown]
	v_mul_f64 v[14:15], v[26:27], s[36:37]
	v_fma_f64 v[102:103], v[70:71], s[52:53], v[80:81]
	v_fma_f64 v[80:81], v[70:71], s[22:23], v[80:81]
	v_add_f64 v[54:55], v[0:1], v[54:55]
	v_mul_f64 v[26:27], v[26:27], s[6:7]
	v_add_f64 v[32:33], v[0:1], v[32:33]
	v_add_f64 v[6:7], v[0:1], v[6:7]
	;; [unrolled: 1-line block ×6, first 2 shown]
	v_fma_f64 v[90:91], v[70:71], s[50:51], v[74:75]
	v_fma_f64 v[74:75], v[70:71], s[10:11], v[74:75]
	v_add_f64 v[30:31], v[0:1], v[30:31]
	v_add_f64 v[56:57], v[0:1], v[56:57]
	;; [unrolled: 1-line block ×9, first 2 shown]
	v_fma_f64 v[98:99], v[70:71], s[54:55], v[78:79]
	v_fma_f64 v[78:79], v[70:71], s[18:19], v[78:79]
	;; [unrolled: 1-line block ×3, first 2 shown]
	v_add_f64 v[54:55], v[80:81], v[54:55]
	v_fma_f64 v[80:81], v[70:71], s[4:5], v[26:27]
	v_fma_f64 v[26:27], v[70:71], s[46:47], v[26:27]
	;; [unrolled: 1-line block ×5, first 2 shown]
	v_add_f64 v[46:47], v[102:103], v[46:47]
	v_mul_f64 v[102:103], v[44:45], s[28:29]
	v_add_f64 v[32:33], v[90:91], v[32:33]
	v_add_f64 v[6:7], v[74:75], v[6:7]
	v_mul_f64 v[74:75], v[44:45], s[34:35]
	v_fma_f64 v[90:91], v[70:71], s[20:21], v[92:93]
	v_fma_f64 v[92:93], v[70:71], s[40:41], v[92:93]
	v_add_f64 v[186:187], v[36:37], v[8:9]
	v_add_f64 v[182:183], v[50:51], v[22:23]
	;; [unrolled: 1-line block ×5, first 2 shown]
	v_fma_f64 v[78:79], v[70:71], s[12:13], v[100:101]
	v_mul_f64 v[98:99], v[44:45], s[38:39]
	v_fma_f64 v[100:101], v[70:71], s[44:45], v[100:101]
	v_add_f64 v[0:1], v[26:27], v[0:1]
	s_clause 0x1
	buffer_load_dword v26, off, s[56:59], 0 offset:272
	buffer_load_dword v27, off, s[56:59], 0 offset:276
	v_mul_f64 v[70:71], v[44:45], s[14:15]
	v_add_f64 v[2:3], v[2:3], v[56:57]
	v_fma_f64 v[56:57], v[106:107], s[44:45], v[108:109]
	v_add_f64 v[62:63], v[104:105], v[62:63]
	v_add_f64 v[30:31], v[86:87], v[30:31]
	v_add_f64 v[14:15], v[14:15], v[28:29]
	v_fma_f64 v[28:29], v[106:107], s[12:13], v[108:109]
	v_mul_f64 v[86:87], v[44:45], s[6:7]
	v_fma_f64 v[104:105], v[106:107], s[52:53], v[74:75]
	v_add_f64 v[76:77], v[90:91], v[76:77]
	v_add_f64 v[24:25], v[92:93], v[24:25]
	v_fma_f64 v[74:75], v[106:107], s[22:23], v[74:75]
	v_mul_f64 v[90:91], v[44:45], s[24:25]
	v_add_f64 v[80:81], v[80:81], v[88:89]
	v_mul_f64 v[88:89], v[48:49], s[24:25]
	v_mul_f64 v[44:45], v[44:45], s[36:37]
	v_add_f64 v[78:79], v[78:79], v[82:83]
	v_fma_f64 v[82:83], v[106:107], s[30:31], v[98:99]
	v_fma_f64 v[92:93], v[106:107], s[48:49], v[98:99]
	v_add_f64 v[38:39], v[100:101], v[38:39]
	v_fma_f64 v[98:99], v[106:107], s[20:21], v[102:103]
	v_fma_f64 v[100:101], v[106:107], s[40:41], v[102:103]
	;; [unrolled: 1-line block ×4, first 2 shown]
	v_add_f64 v[32:33], v[56:57], v[32:33]
	v_mul_f64 v[56:57], v[48:49], s[38:39]
	v_add_f64 v[6:7], v[28:29], v[6:7]
	v_fma_f64 v[28:29], v[106:107], s[46:47], v[86:87]
	v_add_f64 v[20:21], v[104:105], v[20:21]
	v_fma_f64 v[86:87], v[106:107], s[4:5], v[86:87]
	v_mul_f64 v[104:105], v[48:49], s[28:29]
	v_add_f64 v[34:35], v[74:75], v[34:35]
	v_fma_f64 v[74:75], v[106:107], s[54:55], v[90:91]
	v_fma_f64 v[90:91], v[106:107], s[18:19], v[90:91]
	v_add_f64 v[46:47], v[82:83], v[46:47]
	v_add_f64 v[54:55], v[92:93], v[54:55]
	v_mul_f64 v[82:83], v[48:49], s[6:7]
	v_add_f64 v[62:63], v[98:99], v[62:63]
	v_add_f64 v[30:31], v[100:101], v[30:31]
	;; [unrolled: 1-line block ×4, first 2 shown]
	v_mul_f64 v[102:103], v[48:49], s[36:37]
	v_fma_f64 v[92:93], v[106:107], s[42:43], v[44:45]
	v_fma_f64 v[44:45], v[106:107], s[26:27], v[44:45]
	v_mul_f64 v[98:99], v[48:49], s[16:17]
	v_add_f64 v[28:29], v[28:29], v[76:77]
	v_add_f64 v[106:107], v[16:17], v[4:5]
	;; [unrolled: 1-line block ×3, first 2 shown]
	v_mul_f64 v[86:87], v[48:49], s[34:35]
	v_mul_f64 v[48:49], v[48:49], s[14:15]
	v_add_f64 v[74:75], v[74:75], v[78:79]
	v_add_f64 v[38:39], v[90:91], v[38:39]
	;; [unrolled: 1-line block ×3, first 2 shown]
	v_mul_f64 v[92:93], v[52:53], s[28:29]
	v_add_f64 v[0:1], v[44:45], v[0:1]
	s_waitcnt vmcnt(0)
	v_add_f64 v[26:27], v[26:27], -v[134:135]
	v_fma_f64 v[100:101], v[26:27], s[54:55], v[88:89]
	v_fma_f64 v[70:71], v[26:27], s[18:19], v[88:89]
	;; [unrolled: 1-line block ×11, first 2 shown]
	v_add_f64 v[32:33], v[100:101], v[32:33]
	v_add_f64 v[6:7], v[70:71], v[6:7]
	;; [unrolled: 1-line block ×3, first 2 shown]
	v_fma_f64 v[70:71], v[26:27], s[42:43], v[102:103]
	v_fma_f64 v[88:89], v[26:27], s[26:27], v[102:103]
	v_add_f64 v[34:35], v[56:57], v[34:35]
	v_mul_f64 v[56:57], v[52:53], s[14:15]
	v_add_f64 v[46:47], v[76:77], v[46:47]
	v_fma_f64 v[76:77], v[26:27], s[22:23], v[86:87]
	v_fma_f64 v[86:87], v[26:27], s[52:53], v[86:87]
	v_add_f64 v[54:55], v[78:79], v[54:55]
	v_mul_f64 v[100:101], v[52:53], s[36:37]
	v_mul_f64 v[102:103], v[52:53], s[16:17]
	v_add_f64 v[62:63], v[90:91], v[62:63]
	v_add_f64 v[30:31], v[82:83], v[30:31]
	v_fma_f64 v[26:27], v[26:27], s[50:51], v[48:49]
	v_fma_f64 v[48:49], v[60:61], s[40:41], v[92:93]
	v_mul_f64 v[78:79], v[52:53], s[38:39]
	v_add_f64 v[2:3], v[44:45], v[2:3]
	v_fma_f64 v[44:45], v[60:61], s[20:21], v[92:93]
	v_add_f64 v[14:15], v[98:99], v[14:15]
	v_mul_f64 v[90:91], v[52:53], s[24:25]
	v_add_f64 v[98:99], v[136:137], -v[142:143]
	v_add_f64 v[80:81], v[104:105], v[80:81]
	v_add_f64 v[28:29], v[70:71], v[28:29]
	;; [unrolled: 1-line block ×3, first 2 shown]
	v_mul_f64 v[70:71], v[52:53], s[6:7]
	v_fma_f64 v[88:89], v[60:61], s[10:11], v[56:57]
	v_fma_f64 v[56:57], v[60:61], s[50:51], v[56:57]
	v_add_f64 v[74:75], v[76:77], v[74:75]
	v_add_f64 v[38:39], v[86:87], v[38:39]
	v_mul_f64 v[52:53], v[52:53], s[34:35]
	v_fma_f64 v[82:83], v[60:61], s[26:27], v[100:101]
	v_fma_f64 v[92:93], v[60:61], s[42:43], v[100:101]
	;; [unrolled: 1-line block ×4, first 2 shown]
	v_mul_f64 v[100:101], v[58:59], s[34:35]
	v_add_f64 v[0:1], v[26:27], v[0:1]
	v_add_f64 v[26:27], v[48:49], v[32:33]
	v_fma_f64 v[32:33], v[60:61], s[48:49], v[78:79]
	v_mul_f64 v[48:49], v[58:59], s[28:29]
	v_add_f64 v[6:7], v[44:45], v[6:7]
	v_fma_f64 v[44:45], v[60:61], s[30:31], v[78:79]
	v_fma_f64 v[78:79], v[60:61], s[18:19], v[90:91]
	;; [unrolled: 1-line block ×3, first 2 shown]
	v_add_f64 v[46:47], v[88:89], v[46:47]
	v_add_f64 v[54:55], v[56:57], v[54:55]
	v_fma_f64 v[56:57], v[60:61], s[4:5], v[70:71]
	v_add_f64 v[20:21], v[82:83], v[20:21]
	v_add_f64 v[34:35], v[92:93], v[34:35]
	v_mul_f64 v[82:83], v[58:59], s[6:7]
	v_fma_f64 v[92:93], v[60:61], s[46:47], v[70:71]
	v_add_f64 v[62:63], v[76:77], v[62:63]
	v_mul_f64 v[70:71], v[58:59], s[36:37]
	v_fma_f64 v[76:77], v[60:61], s[52:53], v[52:53]
	v_fma_f64 v[52:53], v[60:61], s[22:23], v[52:53]
	v_add_f64 v[30:31], v[86:87], v[30:31]
	v_fma_f64 v[60:61], v[98:99], s[52:53], v[100:101]
	v_mul_f64 v[86:87], v[58:59], s[24:25]
	v_fma_f64 v[88:89], v[98:99], s[22:23], v[100:101]
	v_add_f64 v[2:3], v[32:33], v[2:3]
	v_fma_f64 v[32:33], v[98:99], s[20:21], v[48:49]
	v_mul_f64 v[100:101], v[58:59], s[14:15]
	v_add_f64 v[14:15], v[44:45], v[14:15]
	v_fma_f64 v[44:45], v[98:99], s[40:41], v[48:49]
	v_add_f64 v[28:29], v[78:79], v[28:29]
	v_mul_f64 v[48:49], v[58:59], s[38:39]
	v_add_f64 v[38:39], v[56:57], v[38:39]
	s_clause 0x3
	buffer_load_dword v56, off, s[56:59], 0 offset:288
	buffer_load_dword v57, off, s[56:59], 0 offset:292
	;; [unrolled: 1-line block ×4, first 2 shown]
	v_add_f64 v[24:25], v[90:91], v[24:25]
	v_mul_f64 v[58:59], v[58:59], s[16:17]
	v_mul_f64 v[90:91], v[64:65], s[36:37]
	v_fma_f64 v[78:79], v[98:99], s[46:47], v[82:83]
	v_add_f64 v[74:75], v[92:93], v[74:75]
	v_fma_f64 v[82:83], v[98:99], s[4:5], v[82:83]
	v_fma_f64 v[92:93], v[98:99], s[42:43], v[70:71]
	v_add_f64 v[76:77], v[76:77], v[80:81]
	v_add_f64 v[0:1], v[52:53], v[0:1]
	v_fma_f64 v[52:53], v[98:99], s[26:27], v[70:71]
	v_add_f64 v[26:27], v[60:61], v[26:27]
	v_fma_f64 v[60:61], v[98:99], s[18:19], v[86:87]
	;; [unrolled: 2-line block ×4, first 2 shown]
	v_fma_f64 v[80:81], v[98:99], s[10:11], v[100:101]
	v_add_f64 v[34:35], v[44:45], v[34:35]
	v_mul_f64 v[44:45], v[64:65], s[16:17]
	v_fma_f64 v[86:87], v[98:99], s[48:49], v[48:49]
	v_fma_f64 v[48:49], v[98:99], s[30:31], v[48:49]
	;; [unrolled: 1-line block ×4, first 2 shown]
	v_add_f64 v[46:47], v[78:79], v[46:47]
	v_mul_f64 v[78:79], v[64:65], s[24:25]
	v_add_f64 v[54:55], v[82:83], v[54:55]
	v_mul_f64 v[82:83], v[64:65], s[34:35]
	;; [unrolled: 2-line block ×5, first 2 shown]
	v_mul_f64 v[64:65], v[64:65], s[28:29]
	v_add_f64 v[14:15], v[70:71], v[14:15]
	v_add_f64 v[28:29], v[32:33], v[28:29]
	v_add_f64 v[24:25], v[80:81], v[24:25]
	v_add_f64 v[32:33], v[66:67], v[190:191]
	v_add_f64 v[74:75], v[86:87], v[74:75]
	v_add_f64 v[38:39], v[48:49], v[38:39]
	v_add_f64 v[76:77], v[88:89], v[76:77]
	v_add_f64 v[0:1], v[58:59], v[0:1]
	s_waitcnt vmcnt(0)
	v_add_f64 v[56:57], v[56:57], -v[68:69]
	v_fma_f64 v[98:99], v[56:57], s[42:43], v[90:91]
	v_fma_f64 v[90:91], v[56:57], s[26:27], v[90:91]
	v_fma_f64 v[70:71], v[56:57], s[12:13], v[44:45]
	v_fma_f64 v[44:45], v[56:57], s[44:45], v[44:45]
	v_fma_f64 v[48:49], v[56:57], s[54:55], v[78:79]
	v_fma_f64 v[78:79], v[56:57], s[18:19], v[78:79]
	v_fma_f64 v[58:59], v[56:57], s[22:23], v[82:83]
	v_fma_f64 v[80:81], v[56:57], s[52:53], v[82:83]
	v_fma_f64 v[82:83], v[56:57], s[46:47], v[92:93]
	v_fma_f64 v[86:87], v[56:57], s[4:5], v[92:93]
	v_fma_f64 v[88:89], v[56:57], s[48:49], v[52:53]
	v_fma_f64 v[52:53], v[56:57], s[30:31], v[52:53]
	v_fma_f64 v[92:93], v[56:57], s[40:41], v[64:65]
	v_add_f64 v[26:27], v[98:99], v[26:27]
	v_add_f64 v[6:7], v[90:91], v[6:7]
	v_fma_f64 v[90:91], v[56:57], s[10:11], v[60:61]
	v_fma_f64 v[60:61], v[56:57], s[50:51], v[60:61]
	;; [unrolled: 1-line block ×3, first 2 shown]
	s_clause 0x3
	buffer_load_dword v64, off, s[56:59], 0 offset:264
	buffer_load_dword v65, off, s[56:59], 0 offset:268
	;; [unrolled: 1-line block ×4, first 2 shown]
	v_add_f64 v[20:21], v[70:71], v[20:21]
	v_mul_f64 v[70:71], v[32:33], s[6:7]
	v_add_f64 v[34:35], v[44:45], v[34:35]
	v_mul_f64 v[44:45], v[32:33], s[36:37]
	;; [unrolled: 2-line block ×6, first 2 shown]
	s_waitcnt vmcnt(0) lgkmcnt(0)
	s_barrier
	buffer_gl0_inv
	v_add_f64 v[2:3], v[82:83], v[2:3]
	v_add_f64 v[14:15], v[86:87], v[14:15]
	;; [unrolled: 1-line block ×9, first 2 shown]
	v_add_f64 v[64:65], v[64:65], -v[66:67]
	v_mul_f64 v[66:67], v[32:33], s[38:39]
	v_mul_f64 v[32:33], v[32:33], s[24:25]
	v_fma_f64 v[76:77], v[64:65], s[4:5], v[70:71]
	v_fma_f64 v[56:57], v[64:65], s[48:49], v[66:67]
	;; [unrolled: 1-line block ×16, first 2 shown]
	v_add_f64 v[70:71], v[76:77], v[20:21]
	v_add_nc_u32_e32 v20, 0x400, v255
	v_add_f64 v[150:151], v[102:103], v[60:61]
	v_add_f64 v[152:153], v[32:33], v[0:1]
	buffer_load_dword v0, off, s[56:59], 0  ; 4-byte Folded Reload
	v_add_nc_u32_e32 v60, 0x800, v255
	v_add_nc_u32_e32 v61, 0x1000, v255
	v_add_f64 v[74:75], v[56:57], v[26:27]
	v_add_f64 v[136:137], v[66:67], v[6:7]
	;; [unrolled: 1-line block ×13, first 2 shown]
	s_waitcnt vmcnt(0)
	ds_read_b64 v[134:135], v0
	ds_read2_b64 v[16:19], v255 offset0:119 offset1:136
	ds_read2_b64 v[4:7], v255 offset0:221 offset1:238
	;; [unrolled: 1-line block ×17, first 2 shown]
	s_waitcnt lgkmcnt(0)
	s_barrier
	buffer_gl0_inv
	ds_write2_b64 v113, v[162:163], v[84:85] offset1:7
	ds_write2_b64 v113, v[94:95], v[96:97] offset0:14 offset1:21
	ds_write2_b64 v113, v[176:177], v[178:179] offset0:28 offset1:35
	;; [unrolled: 1-line block ×7, first 2 shown]
	ds_write_b64 v113, v[156:157] offset:896
	ds_write2_b64 v251, v[82:83], v[74:75] offset1:7
	ds_write2_b64 v251, v[70:71], v[72:73] offset0:14 offset1:21
	ds_write2_b64 v251, v[170:171], v[172:173] offset0:28 offset1:35
	;; [unrolled: 1-line block ×7, first 2 shown]
	ds_write_b64 v251, v[136:137] offset:896
	s_and_saveexec_b32 s33, s0
	s_cbranch_execz .LBB0_18
; %bb.17:
	s_clause 0x5
	buffer_load_dword v70, off, s[56:59], 0 offset:256
	buffer_load_dword v71, off, s[56:59], 0 offset:260
	buffer_load_dword v170, off, s[56:59], 0 offset:40
	buffer_load_dword v171, off, s[56:59], 0 offset:44
	buffer_load_dword v117, off, s[56:59], 0 offset:96
	buffer_load_dword v118, off, s[56:59], 0 offset:100
	s_mov_b32 s16, 0x370991
	s_mov_b32 s22, 0x75d4884
	;; [unrolled: 1-line block ×48, first 2 shown]
	s_waitcnt vmcnt(4)
	v_add_f64 v[72:73], v[70:71], -v[126:127]
	s_clause 0x3
	buffer_load_dword v70, off, s[56:59], 0 offset:144
	buffer_load_dword v71, off, s[56:59], 0 offset:148
	;; [unrolled: 1-line block ×4, first 2 shown]
	s_waitcnt vmcnt(4)
	v_add_f64 v[74:75], v[117:118], v[170:171]
	v_mul_f64 v[76:77], v[74:75], s[16:17]
	v_mul_f64 v[80:81], v[74:75], s[22:23]
	;; [unrolled: 1-line block ×6, first 2 shown]
	v_fma_f64 v[100:101], v[72:73], s[0:1], v[76:77]
	v_fma_f64 v[76:77], v[72:73], s[4:5], v[76:77]
	;; [unrolled: 1-line block ×12, first 2 shown]
	s_waitcnt vmcnt(0)
	v_add_f64 v[78:79], v[70:71], -v[78:79]
	s_clause 0x3
	buffer_load_dword v70, off, s[56:59], 0 offset:160
	buffer_load_dword v71, off, s[56:59], 0 offset:164
	buffer_load_dword v82, off, s[56:59], 0 offset:240
	buffer_load_dword v83, off, s[56:59], 0 offset:244
	s_waitcnt vmcnt(0)
	v_add_f64 v[82:83], v[70:71], -v[82:83]
	s_clause 0x3
	buffer_load_dword v70, off, s[56:59], 0 offset:168
	buffer_load_dword v71, off, s[56:59], 0 offset:172
	buffer_load_dword v86, off, s[56:59], 0 offset:232
	buffer_load_dword v87, off, s[56:59], 0 offset:236
	;; [unrolled: 7-line block ×5, first 2 shown]
	buffer_load_dword v68, off, s[56:59], 0 offset:416
	buffer_load_dword v69, off, s[56:59], 0 offset:420
	s_waitcnt vmcnt(2)
	v_add_f64 v[70:71], v[70:71], -v[98:99]
	v_mul_f64 v[98:99], v[74:75], s[50:51]
	v_mul_f64 v[74:75], v[74:75], s[52:53]
	s_waitcnt vmcnt(0)
	v_add_f64 v[76:77], v[68:69], v[76:77]
	v_add_f64 v[100:101], v[68:69], v[100:101]
	v_add_f64 v[102:103], v[68:69], v[102:103]
	v_add_f64 v[104:105], v[68:69], v[104:105]
	v_add_f64 v[106:107], v[68:69], v[106:107]
	v_add_f64 v[80:81], v[68:69], v[80:81]
	v_add_f64 v[84:85], v[68:69], v[84:85]
	v_add_f64 v[88:89], v[68:69], v[88:89]
	v_add_f64 v[108:109], v[68:69], v[108:109]
	v_add_f64 v[92:93], v[68:69], v[92:93]
	v_add_f64 v[110:111], v[68:69], v[110:111]
	v_add_f64 v[96:97], v[68:69], v[96:97]
	v_fma_f64 v[113:114], v[72:73], s[40:41], v[98:99]
	v_fma_f64 v[98:99], v[72:73], s[42:43], v[98:99]
	;; [unrolled: 1-line block ×4, first 2 shown]
	v_add_f64 v[74:75], v[68:69], v[117:118]
	s_clause 0xb
	buffer_load_dword v117, off, s[56:59], 0 offset:104
	buffer_load_dword v118, off, s[56:59], 0 offset:108
	;; [unrolled: 1-line block ×12, first 2 shown]
	v_add_f64 v[113:114], v[68:69], v[113:114]
	v_add_f64 v[98:99], v[68:69], v[98:99]
	;; [unrolled: 1-line block ×4, first 2 shown]
	s_waitcnt vmcnt(10)
	v_add_f64 v[74:75], v[74:75], v[117:118]
	s_waitcnt vmcnt(8)
	v_add_f64 v[117:118], v[117:118], v[178:179]
	;; [unrolled: 2-line block ×3, first 2 shown]
	v_mul_f64 v[119:120], v[117:118], s[22:23]
	v_mul_f64 v[121:122], v[117:118], s[30:31]
	;; [unrolled: 1-line block ×8, first 2 shown]
	s_waitcnt vmcnt(4)
	v_add_f64 v[74:75], v[74:75], v[174:175]
	v_fma_f64 v[136:137], v[78:79], s[6:7], v[119:120]
	v_fma_f64 v[119:120], v[78:79], s[10:11], v[119:120]
	v_fma_f64 v[138:139], v[78:79], s[18:19], v[121:122]
	v_fma_f64 v[121:122], v[78:79], s[20:21], v[121:122]
	v_fma_f64 v[140:141], v[78:79], s[36:37], v[123:124]
	v_fma_f64 v[123:124], v[78:79], s[34:35], v[123:124]
	v_fma_f64 v[142:143], v[78:79], s[48:49], v[125:126]
	v_fma_f64 v[125:126], v[78:79], s[44:45], v[125:126]
	v_fma_f64 v[144:145], v[78:79], s[42:43], v[127:128]
	v_fma_f64 v[127:128], v[78:79], s[40:41], v[127:128]
	v_fma_f64 v[146:147], v[78:79], s[28:29], v[129:130]
	v_fma_f64 v[129:130], v[78:79], s[24:25], v[129:130]
	v_fma_f64 v[148:149], v[78:79], s[14:15], v[131:132]
	v_fma_f64 v[131:132], v[78:79], s[12:13], v[131:132]
	v_fma_f64 v[150:151], v[78:79], s[4:5], v[117:118]
	v_fma_f64 v[78:79], v[78:79], s[0:1], v[117:118]
	s_clause 0x7
	buffer_load_dword v117, off, s[56:59], 0 offset:128
	buffer_load_dword v118, off, s[56:59], 0 offset:132
	;; [unrolled: 1-line block ×8, first 2 shown]
	s_waitcnt vmcnt(10)
	v_add_f64 v[74:75], v[74:75], v[176:177]
	v_add_f64 v[72:73], v[136:137], v[100:101]
	;; [unrolled: 1-line block ×3, first 2 shown]
	s_clause 0x3
	buffer_load_dword v119, off, s[56:59], 0 offset:136
	buffer_load_dword v120, off, s[56:59], 0 offset:140
	;; [unrolled: 1-line block ×4, first 2 shown]
	v_add_f64 v[100:101], v[138:139], v[102:103]
	v_add_f64 v[102:103], v[140:141], v[104:105]
	;; [unrolled: 1-line block ×14, first 2 shown]
	s_waitcnt vmcnt(12)
	v_add_f64 v[74:75], v[74:75], v[154:155]
	s_waitcnt vmcnt(10)
	v_add_f64 v[74:75], v[74:75], v[117:118]
	;; [unrolled: 2-line block ×4, first 2 shown]
	v_add_f64 v[74:75], v[74:75], v[168:169]
	v_add_f64 v[74:75], v[74:75], v[172:173]
	;; [unrolled: 1-line block ×4, first 2 shown]
	s_waitcnt vmcnt(0)
	v_add_f64 v[119:120], v[152:153], v[180:181]
	v_mul_f64 v[121:122], v[119:120], s[26:27]
	v_mul_f64 v[123:124], v[119:120], s[46:47]
	;; [unrolled: 1-line block ×8, first 2 shown]
	v_fma_f64 v[152:153], v[82:83], s[12:13], v[121:122]
	v_fma_f64 v[121:122], v[82:83], s[14:15], v[121:122]
	;; [unrolled: 1-line block ×16, first 2 shown]
	s_clause 0x1
	buffer_load_dword v119, off, s[56:59], 0 offset:112
	buffer_load_dword v120, off, s[56:59], 0 offset:116
	v_add_f64 v[72:73], v[152:153], v[72:73]
	v_add_f64 v[76:77], v[121:122], v[76:77]
	;; [unrolled: 1-line block ×16, first 2 shown]
	s_waitcnt vmcnt(0)
	v_add_f64 v[104:105], v[176:177], v[119:120]
	s_clause 0x1
	buffer_load_dword v176, off, s[56:59], 0 offset:152
	buffer_load_dword v177, off, s[56:59], 0 offset:156
	v_add_f64 v[74:75], v[74:75], v[119:120]
	v_mul_f64 v[138:139], v[104:105], s[16:17]
	v_fma_f64 v[160:161], v[90:91], s[0:1], v[138:139]
	v_fma_f64 v[138:139], v[90:91], s[4:5], v[138:139]
	s_waitcnt vmcnt(0)
	v_add_f64 v[119:120], v[174:175], v[176:177]
	v_add_f64 v[74:75], v[74:75], v[176:177]
	v_mul_f64 v[123:124], v[119:120], s[52:53]
	v_mul_f64 v[121:122], v[119:120], s[30:31]
	;; [unrolled: 1-line block ×8, first 2 shown]
	v_add_f64 v[74:75], v[74:75], v[180:181]
	v_fma_f64 v[146:147], v[86:87], s[48:49], v[123:124]
	v_fma_f64 v[123:124], v[86:87], s[44:45], v[123:124]
	;; [unrolled: 1-line block ×16, first 2 shown]
	v_mul_f64 v[119:120], v[104:105], s[50:51]
	v_add_f64 v[74:75], v[74:75], v[178:179]
	v_add_f64 v[78:79], v[146:147], v[78:79]
	;; [unrolled: 1-line block ×3, first 2 shown]
	v_mul_f64 v[123:124], v[104:105], s[26:27]
	v_add_f64 v[76:77], v[121:122], v[76:77]
	v_add_f64 v[82:83], v[148:149], v[100:101]
	;; [unrolled: 1-line block ×5, first 2 shown]
	v_mul_f64 v[102:103], v[104:105], s[38:39]
	v_mul_f64 v[121:122], v[104:105], s[22:23]
	;; [unrolled: 1-line block ×5, first 2 shown]
	v_add_f64 v[72:73], v[144:145], v[72:73]
	v_add_f64 v[92:93], v[129:130], v[92:93]
	;; [unrolled: 1-line block ×3, first 2 shown]
	v_fma_f64 v[142:143], v[90:91], s[42:43], v[119:120]
	v_fma_f64 v[119:120], v[90:91], s[40:41], v[119:120]
	v_add_f64 v[96:97], v[131:132], v[96:97]
	v_add_f64 v[98:99], v[136:137], v[98:99]
	v_mul_f64 v[129:130], v[106:107], s[52:53]
	v_add_f64 v[74:75], v[74:75], v[170:171]
	v_fma_f64 v[146:147], v[90:91], s[12:13], v[123:124]
	v_fma_f64 v[123:124], v[90:91], s[14:15], v[123:124]
	;; [unrolled: 1-line block ×12, first 2 shown]
	v_add_f64 v[104:105], v[152:153], v[108:109]
	v_add_f64 v[108:109], v[154:155], v[110:111]
	;; [unrolled: 1-line block ×4, first 2 shown]
	v_mul_f64 v[115:116], v[106:107], s[16:17]
	v_add_f64 v[80:81], v[119:120], v[80:81]
	v_add_f64 v[86:87], v[146:147], v[100:101]
	v_mul_f64 v[100:101], v[106:107], s[46:47]
	v_add_f64 v[88:89], v[123:124], v[88:89]
	v_mul_f64 v[119:120], v[106:107], s[50:51]
	v_mul_f64 v[123:124], v[106:107], s[22:23]
	v_add_f64 v[78:79], v[142:143], v[78:79]
	v_add_f64 v[72:73], v[140:141], v[72:73]
	;; [unrolled: 1-line block ×3, first 2 shown]
	v_mul_f64 v[102:103], v[106:107], s[38:39]
	v_add_f64 v[84:85], v[121:122], v[84:85]
	v_mul_f64 v[121:122], v[106:107], s[30:31]
	v_mul_f64 v[106:107], v[106:107], s[26:27]
	v_add_f64 v[82:83], v[144:145], v[82:83]
	v_fma_f64 v[152:153], v[94:95], s[48:49], v[129:130]
	v_fma_f64 v[129:130], v[94:95], s[44:45], v[129:130]
	v_add_f64 v[68:69], v[90:91], v[68:69]
	v_mul_f64 v[90:91], v[117:118], s[50:51]
	v_add_f64 v[98:99], v[138:139], v[98:99]
	v_add_f64 v[96:97], v[127:128], v[96:97]
	;; [unrolled: 1-line block ×3, first 2 shown]
	v_fma_f64 v[140:141], v[94:95], s[0:1], v[115:116]
	v_fma_f64 v[115:116], v[94:95], s[4:5], v[115:116]
	v_add_f64 v[92:93], v[125:126], v[92:93]
	v_fma_f64 v[131:132], v[94:95], s[36:37], v[100:101]
	v_fma_f64 v[100:101], v[94:95], s[34:35], v[100:101]
	;; [unrolled: 1-line block ×6, first 2 shown]
	v_mul_f64 v[125:126], v[117:118], s[52:53]
	v_fma_f64 v[136:137], v[94:95], s[28:29], v[102:103]
	v_fma_f64 v[102:103], v[94:95], s[24:25], v[102:103]
	v_fma_f64 v[144:145], v[94:95], s[20:21], v[121:122]
	v_fma_f64 v[121:122], v[94:95], s[18:19], v[121:122]
	v_fma_f64 v[154:155], v[94:95], s[14:15], v[106:107]
	v_fma_f64 v[94:95], v[94:95], s[12:13], v[106:107]
	v_add_f64 v[106:107], v[150:151], v[108:109]
	v_add_f64 v[108:109], v[160:161], v[110:111]
	v_add_f64 v[110:111], v[162:163], v[113:114]
	v_fma_f64 v[113:114], v[70:71], s[40:41], v[90:91]
	v_add_f64 v[98:99], v[129:130], v[98:99]
	v_fma_f64 v[90:91], v[70:71], s[42:43], v[90:91]
	v_mul_f64 v[138:139], v[127:128], s[52:53]
	v_add_f64 v[84:85], v[115:116], v[84:85]
	v_mul_f64 v[115:116], v[117:118], s[46:47]
	v_add_f64 v[72:73], v[131:132], v[72:73]
	v_add_f64 v[76:77], v[100:101], v[76:77]
	v_mul_f64 v[100:101], v[117:118], s[26:27]
	v_add_f64 v[88:89], v[119:120], v[88:89]
	v_mul_f64 v[119:120], v[117:118], s[16:17]
	v_mul_f64 v[131:132], v[117:118], s[22:23]
	v_add_f64 v[82:83], v[140:141], v[82:83]
	v_add_f64 v[78:79], v[136:137], v[78:79]
	;; [unrolled: 1-line block ×3, first 2 shown]
	v_mul_f64 v[102:103], v[117:118], s[30:31]
	v_add_f64 v[92:93], v[121:122], v[92:93]
	v_mul_f64 v[117:118], v[117:118], s[38:39]
	v_add_f64 v[68:69], v[94:95], v[68:69]
	v_add_f64 v[96:97], v[123:124], v[96:97]
	;; [unrolled: 1-line block ×7, first 2 shown]
	v_mul_f64 v[140:141], v[127:128], s[16:17]
	v_mul_f64 v[142:143], v[127:128], s[26:27]
	v_fma_f64 v[94:95], v[70:71], s[34:35], v[115:116]
	v_add_f64 v[72:73], v[113:114], v[72:73]
	v_fma_f64 v[113:114], v[70:71], s[36:37], v[115:116]
	s_clause 0x3
	buffer_load_dword v115, off, s[56:59], 0 offset:16
	buffer_load_dword v116, off, s[56:59], 0 offset:20
	buffer_load_dword v129, off, s[56:59], 0 offset:32
	buffer_load_dword v130, off, s[56:59], 0 offset:36
	v_add_f64 v[76:77], v[90:91], v[76:77]
	v_fma_f64 v[121:122], v[70:71], s[14:15], v[100:101]
	v_fma_f64 v[100:101], v[70:71], s[12:13], v[100:101]
	;; [unrolled: 1-line block ×5, first 2 shown]
	v_add_f64 v[104:105], v[144:145], v[104:105]
	v_add_f64 v[86:87], v[94:95], v[86:87]
	v_mul_f64 v[94:95], v[127:128], s[38:39]
	v_add_f64 v[88:89], v[113:114], v[88:89]
	v_add_f64 v[78:79], v[121:122], v[78:79]
	;; [unrolled: 1-line block ×3, first 2 shown]
	v_fma_f64 v[100:101], v[70:71], s[10:11], v[131:132]
	v_fma_f64 v[121:122], v[70:71], s[48:49], v[125:126]
	v_fma_f64 v[125:126], v[70:71], s[44:45], v[125:126]
	v_add_f64 v[82:83], v[123:124], v[82:83]
	v_mul_f64 v[123:124], v[127:128], s[50:51]
	v_fma_f64 v[131:132], v[70:71], s[6:7], v[131:132]
	v_add_f64 v[84:85], v[102:103], v[84:85]
	v_mul_f64 v[102:103], v[127:128], s[22:23]
	v_add_f64 v[100:101], v[100:101], v[108:109]
	v_add_f64 v[108:109], v[136:137], v[110:111]
	;; [unrolled: 1-line block ×5, first 2 shown]
	s_waitcnt vmcnt(0)
	v_add_f64 v[115:116], v[115:116], -v[129:130]
	v_fma_f64 v[129:130], v[70:71], s[0:1], v[119:120]
	v_fma_f64 v[119:120], v[70:71], s[4:5], v[119:120]
	v_fma_f64 v[70:71], v[70:71], s[28:29], v[117:118]
	v_mul_f64 v[117:118], v[127:128], s[46:47]
	v_mul_f64 v[127:128], v[127:128], s[30:31]
	v_fma_f64 v[90:91], v[115:116], s[44:45], v[138:139]
	v_fma_f64 v[110:111], v[115:116], s[48:49], v[138:139]
	;; [unrolled: 1-line block ×4, first 2 shown]
	v_add_f64 v[104:105], v[129:130], v[104:105]
	v_fma_f64 v[125:126], v[115:116], s[10:11], v[102:103]
	v_fma_f64 v[102:103], v[115:116], s[6:7], v[102:103]
	v_fma_f64 v[129:130], v[115:116], s[36:37], v[117:118]
	v_fma_f64 v[131:132], v[115:116], s[14:15], v[142:143]
	v_add_f64 v[92:93], v[119:120], v[92:93]
	v_fma_f64 v[119:120], v[115:116], s[0:1], v[140:141]
	v_fma_f64 v[140:141], v[115:116], s[24:25], v[94:95]
	v_add_f64 v[68:69], v[70:71], v[68:69]
	v_fma_f64 v[70:71], v[115:116], s[20:21], v[127:128]
	v_fma_f64 v[127:128], v[115:116], s[18:19], v[127:128]
	;; [unrolled: 1-line block ×6, first 2 shown]
	v_add_f64 v[76:77], v[90:91], v[76:77]
	buffer_load_dword v90, off, s[56:59], 0 offset:4 ; 4-byte Folded Reload
	v_add_f64 v[72:73], v[110:111], v[72:73]
	v_add_f64 v[78:79], v[113:114], v[78:79]
	;; [unrolled: 1-line block ×7, first 2 shown]
	v_mov_b32_e32 v106, 3
	v_add_f64 v[80:81], v[119:120], v[80:81]
	v_add_f64 v[100:101], v[140:141], v[100:101]
	;; [unrolled: 1-line block ×8, first 2 shown]
	v_lshlrev_b32_sdwa v98, v106, v112 dst_sel:DWORD dst_unused:UNUSED_PAD src0_sel:DWORD src1_sel:BYTE_0
	s_waitcnt vmcnt(0)
	v_add3_u32 v90, 0, v98, v90
	v_add_nc_u32_e32 v91, 0x800, v90
	v_add_nc_u32_e32 v98, 0x1000, v90
	ds_write2_b64 v91, v[74:75], v[72:73] offset0:220 offset1:227
	ds_write2_b64 v91, v[78:79], v[82:83] offset0:234 offset1:241
	;; [unrolled: 1-line block ×8, first 2 shown]
	ds_write_b64 v90, v[76:77] offset:4704
.LBB0_18:
	s_or_b32 exec_lo, exec_lo, s33
	s_waitcnt lgkmcnt(0)
	s_barrier
	buffer_gl0_inv
	s_and_saveexec_b32 s0, vcc_lo
	s_cbranch_execz .LBB0_20
; %bb.19:
	v_add_nc_u32_e32 v114, 0x66, v232
	v_mov_b32_e32 v113, 0
	v_add_nc_u32_e32 v115, 0x55, v232
	v_add_nc_u32_e32 v116, 0x44, v232
	;; [unrolled: 1-line block ×3, first 2 shown]
	v_lshlrev_b32_e32 v112, 2, v114
	v_add_nc_u32_e32 v251, 34, v232
	v_add_nc_u32_e32 v241, 0x1000, v255
	;; [unrolled: 1-line block ×3, first 2 shown]
	s_mov_b32 s11, 0xbfee6f0e
	v_lshlrev_b64 v[68:69], 4, v[112:113]
	v_lshlrev_b32_e32 v112, 2, v115
	s_mov_b32 s4, 0x4755a5e
	s_mov_b32 s5, 0xbfe2cf23
	;; [unrolled: 1-line block ×4, first 2 shown]
	v_lshlrev_b64 v[72:73], 4, v[112:113]
	v_add_co_u32 v118, vcc_lo, s8, v68
	v_add_co_ci_u32_e32 v119, vcc_lo, s9, v69, vcc_lo
	v_lshlrev_b32_e32 v112, 2, v116
	v_add_co_u32 v92, vcc_lo, s8, v72
	v_add_co_ci_u32_e32 v93, vcc_lo, s9, v73, vcc_lo
	v_lshlrev_b64 v[84:85], 4, v[112:113]
	global_load_dwordx4 v[68:71], v[118:119], off offset:1808
	v_lshlrev_b32_e32 v112, 2, v117
	s_clause 0x4
	global_load_dwordx4 v[72:75], v[92:93], off offset:1808
	global_load_dwordx4 v[88:91], v[118:119], off offset:1840
	;; [unrolled: 1-line block ×5, first 2 shown]
	v_add_co_u32 v122, vcc_lo, s8, v84
	v_add_co_ci_u32_e32 v123, vcc_lo, s9, v85, vcc_lo
	s_mov_b32 s0, 0x372fe950
	s_mov_b32 s1, 0x3fd3c6ef
	global_load_dwordx4 v[100:103], v[122:123], off offset:1792
	v_lshlrev_b64 v[92:93], 4, v[112:113]
	global_load_dwordx4 v[84:87], v[122:123], off offset:1824
	v_lshlrev_b32_e32 v112, 2, v251
	v_add_co_u32 v136, vcc_lo, s8, v92
	v_add_co_ci_u32_e32 v137, vcc_lo, s9, v93, vcc_lo
	s_clause 0x2
	global_load_dwordx4 v[92:95], v[122:123], off offset:1808
	global_load_dwordx4 v[108:111], v[136:137], off offset:1808
	global_load_dwordx4 v[96:99], v[118:119], off offset:1824
	v_lshlrev_b64 v[140:141], 4, v[112:113]
	v_add_nc_u32_e32 v112, 17, v232
	s_clause 0x4
	global_load_dwordx4 v[118:121], v[118:119], off offset:1792
	global_load_dwordx4 v[122:125], v[122:123], off offset:1840
	;; [unrolled: 1-line block ×5, first 2 shown]
	v_lshlrev_b32_e32 v112, 2, v112
	v_add_co_u32 v152, vcc_lo, s8, v140
	v_add_co_ci_u32_e32 v153, vcc_lo, s9, v141, vcc_lo
	v_lshlrev_b64 v[156:157], 4, v[112:113]
	v_lshlrev_b32_e32 v112, 2, v232
	s_clause 0x3
	global_load_dwordx4 v[140:143], v[152:153], off offset:1808
	global_load_dwordx4 v[144:147], v[152:153], off offset:1792
	;; [unrolled: 1-line block ×4, first 2 shown]
	v_lshlrev_b64 v[172:173], 4, v[112:113]
	v_add_co_u32 v168, vcc_lo, s8, v156
	v_add_co_ci_u32_e32 v169, vcc_lo, s9, v157, vcc_lo
	s_clause 0x3
	global_load_dwordx4 v[156:159], v[168:169], off offset:1808
	global_load_dwordx4 v[160:163], v[168:169], off offset:1792
	;; [unrolled: 1-line block ×4, first 2 shown]
	v_add_co_u32 v184, vcc_lo, s8, v172
	v_add_co_ci_u32_e32 v185, vcc_lo, s9, v173, vcc_lo
	s_clause 0x3
	global_load_dwordx4 v[172:175], v[184:185], off offset:1808
	global_load_dwordx4 v[176:179], v[184:185], off offset:1792
	;; [unrolled: 1-line block ×4, first 2 shown]
	v_add_nc_u32_e32 v112, 0x800, v255
	s_mov_b32 s8, 0x134454ff
	s_mov_b32 s9, 0x3fee6f0e
	s_mov_b32 s10, s8
	ds_read2_b64 v[188:191], v112 offset0:67 offset1:84
	ds_read2_b64 v[192:195], v241 offset0:49 offset1:66
	;; [unrolled: 1-line block ×8, first 2 shown]
	s_waitcnt vmcnt(27)
	v_mul_f64 v[220:221], v[66:67], v[70:71]
	s_waitcnt lgkmcnt(7)
	v_mul_f64 v[70:71], v[190:191], v[70:71]
	s_waitcnt vmcnt(24)
	v_mul_f64 v[226:227], v[60:61], v[82:83]
	v_mul_f64 v[222:223], v[64:65], v[74:75]
	;; [unrolled: 1-line block ×4, first 2 shown]
	s_waitcnt lgkmcnt(6)
	v_mul_f64 v[90:91], v[194:195], v[90:91]
	v_mul_f64 v[82:83], v[192:193], v[82:83]
	s_waitcnt vmcnt(23)
	v_mul_f64 v[228:229], v[58:59], v[78:79]
	s_waitcnt lgkmcnt(5)
	v_mul_f64 v[230:231], v[198:199], v[78:79]
	s_waitcnt vmcnt(22)
	v_mul_f64 v[237:238], v[54:55], v[106:107]
	s_waitcnt lgkmcnt(4)
	v_mul_f64 v[106:107], v[202:203], v[106:107]
	s_waitcnt vmcnt(21)
	v_mul_f64 v[239:240], v[52:53], v[102:103]
	v_mul_f64 v[102:103], v[200:201], v[102:103]
	s_waitcnt vmcnt(20)
	v_mul_f64 v[233:234], v[56:57], v[86:87]
	v_fma_f64 v[190:191], v[190:191], v[68:69], -v[220:221]
	v_fma_f64 v[220:221], v[66:67], v[68:69], v[70:71]
	v_fma_f64 v[192:193], v[192:193], v[80:81], -v[226:227]
	s_waitcnt vmcnt(19)
	v_mul_f64 v[226:227], v[50:51], v[94:95]
	s_waitcnt lgkmcnt(0)
	v_mul_f64 v[94:95], v[218:219], v[94:95]
	ds_read2_b64 v[66:69], v255 offset0:153 offset1:170
	v_fma_f64 v[188:189], v[188:189], v[72:73], -v[222:223]
	v_mul_f64 v[222:223], v[196:197], v[86:87]
	v_fma_f64 v[235:236], v[64:65], v[72:73], v[74:75]
	ds_read2_b64 v[70:73], v255 offset0:17 offset1:34
	v_fma_f64 v[194:195], v[194:195], v[88:89], -v[224:225]
	v_fma_f64 v[90:91], v[62:63], v[88:89], v[90:91]
	ds_read2_b64 v[62:65], v112 offset0:203 offset1:220
	v_fma_f64 v[224:225], v[60:61], v[80:81], v[82:83]
	ds_read2_b64 v[78:81], v255 offset0:119 offset1:136
	ds_read2_b64 v[86:89], v241 offset0:15 offset1:32
	v_fma_f64 v[198:199], v[198:199], v[76:77], -v[228:229]
	v_fma_f64 v[228:229], v[58:59], v[76:77], v[230:231]
	ds_read2_b64 v[58:61], v112 offset0:135 offset1:152
	v_fma_f64 v[196:197], v[196:197], v[84:85], -v[233:234]
	s_waitcnt vmcnt(18)
	v_mul_f64 v[230:231], v[48:49], v[110:111]
	v_mul_f64 v[110:111], v[216:217], v[110:111]
	v_fma_f64 v[202:203], v[202:203], v[104:105], -v[237:238]
	v_fma_f64 v[104:105], v[54:55], v[104:105], v[106:107]
	s_waitcnt vmcnt(17)
	v_mul_f64 v[106:107], v[12:13], v[98:99]
	v_fma_f64 v[200:201], v[200:201], v[100:101], -v[239:240]
	v_fma_f64 v[100:101], v[52:53], v[100:101], v[102:103]
	v_fma_f64 v[50:51], v[50:51], v[92:93], v[94:95]
	s_waitcnt vmcnt(12)
	v_mul_f64 v[94:95], v[42:43], v[138:139]
	v_mul_f64 v[102:103], v[46:47], v[124:125]
	v_fma_f64 v[56:57], v[56:57], v[84:85], v[222:223]
	ds_read2_b64 v[74:77], v242 offset0:127 offset1:144
	ds_read2_b64 v[82:85], v112 offset0:237 offset1:254
	v_mul_f64 v[222:223], v[4:5], v[120:121]
	s_waitcnt lgkmcnt(5)
	v_mul_f64 v[98:99], v[62:63], v[98:99]
	v_mul_f64 v[120:121], v[204:205], v[120:121]
	s_waitcnt lgkmcnt(3)
	v_mul_f64 v[124:125], v[88:89], v[124:125]
	v_fma_f64 v[218:219], v[218:219], v[92:93], -v[226:227]
	v_mul_f64 v[92:93], v[44:45], v[132:133]
	s_waitcnt lgkmcnt(2)
	v_mul_f64 v[138:139], v[60:61], v[138:139]
	v_mul_f64 v[132:133], v[86:87], v[132:133]
	;; [unrolled: 1-line block ×3, first 2 shown]
	s_waitcnt vmcnt(9)
	v_mul_f64 v[226:227], v[40:41], v[150:151]
	v_fma_f64 v[216:217], v[216:217], v[108:109], -v[230:231]
	v_fma_f64 v[48:49], v[48:49], v[108:109], v[110:111]
	v_mul_f64 v[108:109], v[68:69], v[128:129]
	v_mul_f64 v[110:111], v[30:31], v[142:143]
	;; [unrolled: 1-line block ×3, first 2 shown]
	v_fma_f64 v[62:63], v[62:63], v[96:97], -v[106:107]
	ds_read2_b64 v[52:55], v112 offset0:101 offset1:118
	v_fma_f64 v[60:61], v[60:61], v[136:137], -v[94:95]
	v_fma_f64 v[88:89], v[88:89], v[122:123], -v[102:103]
	s_waitcnt vmcnt(5) lgkmcnt(1)
	v_mul_f64 v[94:95], v[82:83], v[166:167]
	v_mul_f64 v[102:103], v[84:85], v[154:155]
	v_fma_f64 v[106:107], v[204:205], v[118:119], -v[222:223]
	v_fma_f64 v[12:13], v[12:13], v[96:97], v[98:99]
	v_mul_f64 v[96:97], v[26:27], v[154:155]
	v_mul_f64 v[98:99], v[76:77], v[142:143]
	v_fma_f64 v[4:5], v[4:5], v[118:119], v[120:121]
	v_fma_f64 v[46:47], v[46:47], v[122:123], v[124:125]
	;; [unrolled: 1-line block ×3, first 2 shown]
	s_waitcnt vmcnt(3)
	v_mul_f64 v[138:139], v[206:207], v[174:175]
	v_mul_f64 v[136:137], v[6:7], v[174:175]
	;; [unrolled: 1-line block ×3, first 2 shown]
	v_fma_f64 v[86:87], v[86:87], v[130:131], -v[92:93]
	v_mul_f64 v[92:93], v[18:19], v[162:163]
	v_mul_f64 v[124:125], v[10:11], v[170:171]
	v_fma_f64 v[44:45], v[44:45], v[130:131], v[132:133]
	v_mul_f64 v[130:131], v[24:25], v[166:167]
	v_mul_f64 v[132:133], v[74:75], v[158:159]
	v_mul_f64 v[118:119], v[58:59], v[150:151]
	v_mul_f64 v[120:121], v[66:67], v[146:147]
	s_waitcnt lgkmcnt(0)
	v_mul_f64 v[142:143], v[54:55], v[170:171]
	v_mul_f64 v[146:147], v[80:81], v[162:163]
	v_fma_f64 v[68:69], v[68:69], v[126:127], -v[233:234]
	v_fma_f64 v[38:39], v[38:39], v[126:127], v[108:109]
	s_waitcnt vmcnt(2)
	v_mul_f64 v[108:109], v[16:17], v[178:179]
	s_waitcnt vmcnt(1)
	v_mul_f64 v[126:127], v[8:9], v[182:183]
	v_fma_f64 v[66:67], v[66:67], v[144:145], -v[128:129]
	s_waitcnt vmcnt(0)
	v_mul_f64 v[128:129], v[14:15], v[186:187]
	v_fma_f64 v[58:59], v[58:59], v[148:149], -v[226:227]
	v_mul_f64 v[154:155], v[78:79], v[178:179]
	v_fma_f64 v[76:77], v[76:77], v[140:141], -v[110:111]
	v_fma_f64 v[138:139], v[6:7], v[172:173], v[138:139]
	buffer_load_dword v6, off, s[56:59], 0  ; 4-byte Folded Reload
	v_fma_f64 v[30:31], v[30:31], v[140:141], v[98:99]
	v_fma_f64 v[96:97], v[84:85], v[152:153], -v[96:97]
	v_add_f64 v[84:85], v[106:107], v[194:195]
	v_add_f64 v[140:141], v[190:191], v[62:63]
	;; [unrolled: 1-line block ×3, first 2 shown]
	v_fma_f64 v[122:123], v[74:75], v[156:157], -v[122:123]
	v_add_f64 v[166:167], v[220:221], v[12:13]
	v_fma_f64 v[130:131], v[82:83], v[164:165], -v[130:131]
	v_fma_f64 v[170:171], v[80:81], v[160:161], -v[92:93]
	;; [unrolled: 1-line block ×3, first 2 shown]
	v_fma_f64 v[132:133], v[28:29], v[156:157], v[132:133]
	v_fma_f64 v[156:157], v[24:25], v[164:165], v[94:95]
	v_add_f64 v[24:25], v[202:203], v[192:193]
	v_add_f64 v[80:81], v[188:189], v[198:199]
	;; [unrolled: 1-line block ×4, first 2 shown]
	v_mul_f64 v[150:151], v[52:53], v[182:183]
	v_mul_f64 v[110:111], v[64:65], v[186:187]
	v_fma_f64 v[118:119], v[40:41], v[148:149], v[118:119]
	v_fma_f64 v[36:37], v[36:37], v[144:145], v[120:121]
	;; [unrolled: 1-line block ×3, first 2 shown]
	v_add_f64 v[26:27], v[190:191], -v[106:107]
	v_add_f64 v[40:41], v[62:63], -v[194:195]
	v_add_f64 v[144:145], v[106:107], v[210:211]
	v_add_f64 v[162:163], v[4:5], -v[220:221]
	v_add_f64 v[74:75], v[90:91], -v[12:13]
	v_add_f64 v[82:83], v[34:35], v[4:5]
	v_fma_f64 v[142:143], v[10:11], v[168:169], v[142:143]
	v_fma_f64 v[146:147], v[18:19], v[160:161], v[146:147]
	v_add_f64 v[10:11], v[188:189], -v[202:203]
	v_add_f64 v[18:19], v[198:199], -v[192:193]
	;; [unrolled: 1-line block ×4, first 2 shown]
	v_add_f64 v[92:93], v[202:203], v[208:209]
	v_add_f64 v[94:95], v[235:236], -v[104:105]
	v_add_f64 v[160:161], v[228:229], -v[224:225]
	;; [unrolled: 1-line block ×4, first 2 shown]
	v_fma_f64 v[136:137], v[206:207], v[172:173], -v[136:137]
	v_add_f64 v[182:183], v[32:33], v[104:105]
	v_fma_f64 v[108:109], v[78:79], v[176:177], -v[108:109]
	v_fma_f64 v[126:127], v[52:53], v[180:181], -v[126:127]
	;; [unrolled: 1-line block ×3, first 2 shown]
	v_fma_f64 v[128:129], v[16:17], v[176:177], v[154:155]
	v_add_f64 v[16:17], v[218:219], -v[200:201]
	v_add_f64 v[52:53], v[200:201], v[88:89]
	v_add_f64 v[64:65], v[218:219], v[196:197]
	v_add_f64 v[176:177], v[196:197], -v[88:89]
	v_add_f64 v[206:207], v[100:101], v[46:47]
	v_add_f64 v[222:223], v[50:51], v[56:57]
	;; [unrolled: 1-line block ×4, first 2 shown]
	v_fma_f64 v[84:85], v[84:85], -0.5, v[210:211]
	v_fma_f64 v[140:141], v[140:141], -0.5, v[210:211]
	;; [unrolled: 1-line block ×4, first 2 shown]
	v_add_f64 v[208:209], v[66:67], v[96:97]
	v_add_f64 v[210:211], v[76:77], v[58:59]
	v_fma_f64 v[158:159], v[158:159], -0.5, v[34:35]
	v_fma_f64 v[34:35], v[166:167], -0.5, v[34:35]
	v_fma_f64 v[164:165], v[164:165], -0.5, v[32:33]
	v_fma_f64 v[166:167], v[178:179], -0.5, v[32:33]
	v_add_f64 v[32:33], v[170:171], v[130:131]
	v_add_f64 v[178:179], v[122:123], v[124:125]
	;; [unrolled: 1-line block ×4, first 2 shown]
	v_add_f64 v[40:41], v[88:89], -v[196:197]
	v_fma_f64 v[52:53], v[52:53], -0.5, v[214:215]
	v_fma_f64 v[64:65], v[64:65], -0.5, v[214:215]
	v_add_f64 v[214:215], v[22:23], v[100:101]
	v_fma_f64 v[206:207], v[206:207], -0.5, v[22:23]
	v_fma_f64 v[22:23], v[222:223], -0.5, v[22:23]
	;; [unrolled: 1-line block ×4, first 2 shown]
	v_add_f64 v[230:231], v[200:201], -v[218:219]
	v_add_f64 v[74:75], v[162:163], v[74:75]
	v_add_f64 v[162:163], v[66:67], v[72:73]
	;; [unrolled: 1-line block ×3, first 2 shown]
	v_fma_f64 v[208:209], v[208:209], -0.5, v[72:73]
	v_fma_f64 v[72:73], v[210:211], -0.5, v[72:73]
	v_add_f64 v[237:238], v[28:29], v[54:55]
	v_add_f64 v[94:95], v[94:95], v[160:161]
	v_add_f64 v[28:29], v[60:61], -v[86:87]
	v_add_f64 v[160:161], v[168:169], v[174:175]
	v_fma_f64 v[210:211], v[32:33], -0.5, v[70:71]
	v_fma_f64 v[178:179], v[178:179], -0.5, v[70:71]
	v_add_f64 v[32:33], v[100:101], -v[50:51]
	v_add_f64 v[70:71], v[10:11], v[18:19]
	v_add_f64 v[10:11], v[46:47], -v[56:57]
	v_add_f64 v[18:19], v[216:217], -v[68:69]
	;; [unrolled: 1-line block ×3, first 2 shown]
	v_add_f64 v[168:169], v[16:17], v[176:177]
	v_add_f64 v[16:17], v[86:87], -v[60:61]
	v_add_f64 v[98:99], v[106:107], -v[190:191]
	;; [unrolled: 1-line block ×4, first 2 shown]
	v_add_f64 v[174:175], v[230:231], v[40:41]
	v_add_f64 v[152:153], v[12:13], -v[90:91]
	v_add_f64 v[78:79], v[68:69], v[86:87]
	v_add_f64 v[154:155], v[216:217], v[60:61]
	v_add_f64 v[40:41], v[48:49], -v[38:39]
	v_add_f64 v[20:21], v[20:21], v[38:39]
	v_add_f64 v[104:105], v[104:105], -v[224:225]
	v_add_f64 v[200:201], v[200:201], -v[88:89]
	v_add_f64 v[162:163], v[76:77], v[162:163]
	v_fma_f64 v[14:15], v[14:15], v[184:185], v[110:111]
	v_add_f64 v[110:111], v[122:123], -v[170:171]
	v_add_f64 v[176:177], v[32:33], v[10:11]
	v_add_f64 v[10:11], v[38:39], -v[48:49]
	v_add_f64 v[230:231], v[18:19], v[28:29]
	;; [unrolled: 2-line block ×3, first 2 shown]
	v_add_f64 v[16:17], v[76:77], -v[66:67]
	v_add_f64 v[28:29], v[58:59], -v[96:97]
	v_add_f64 v[98:99], v[98:99], v[102:103]
	v_add_f64 v[102:103], v[50:51], -v[100:101]
	v_add_f64 v[148:149], v[148:149], v[152:153]
	;; [unrolled: 2-line block ×3, first 2 shown]
	v_fma_f64 v[78:79], v[78:79], -0.5, v[212:213]
	v_fma_f64 v[154:155], v[154:155], -0.5, v[212:213]
	v_add_f64 v[212:213], v[68:69], v[212:213]
	v_add_f64 v[54:55], v[4:5], -v[90:91]
	v_add_f64 v[4:5], v[50:51], v[214:215]
	v_add_f64 v[50:51], v[50:51], -v[56:57]
	v_add_f64 v[100:101], v[100:101], -v[46:47]
	v_add_f64 v[20:21], v[48:49], v[20:21]
	v_add_f64 v[48:49], v[48:49], -v[42:43]
	v_add_f64 v[38:39], v[38:39], -v[44:45]
	;; [unrolled: 1-line block ×4, first 2 shown]
	v_add_f64 v[162:163], v[58:59], v[162:163]
	v_add_f64 v[241:242], v[10:11], v[18:19]
	v_add_f64 v[10:11], v[66:67], -v[76:77]
	v_add_f64 v[18:19], v[188:189], v[92:93]
	v_add_f64 v[243:244], v[16:17], v[28:29]
	v_add_f64 v[16:17], v[96:97], -v[58:59]
	v_add_f64 v[28:29], v[235:236], v[182:183]
	v_add_f64 v[92:93], v[190:191], -v[62:63]
	;; [unrolled: 2-line block ×3, first 2 shown]
	v_add_f64 v[182:183], v[218:219], -v[196:197]
	v_add_f64 v[32:33], v[196:197], v[32:33]
	v_add_f64 v[196:197], v[2:3], v[36:37]
	v_add_f64 v[66:67], v[66:67], -v[96:97]
	v_add_f64 v[56:57], v[4:5], v[56:57]
	v_add_f64 v[76:77], v[76:77], -v[58:59]
	v_fma_f64 v[58:59], v[100:101], s[10:11], v[64:65]
	v_add_f64 v[20:21], v[20:21], v[42:43]
	v_fma_f64 v[42:43], v[50:51], s[8:9], v[52:53]
	v_fma_f64 v[64:65], v[100:101], s[8:9], v[64:65]
	v_add_f64 v[214:215], v[132:133], -v[142:143]
	v_fma_f64 v[52:53], v[50:51], s[10:11], v[52:53]
	v_add_f64 v[172:173], v[128:129], v[14:15]
	v_add_f64 v[18:19], v[198:199], v[18:19]
	;; [unrolled: 1-line block ×3, first 2 shown]
	v_add_f64 v[10:11], v[30:31], -v[36:37]
	v_add_f64 v[16:17], v[118:119], -v[120:121]
	v_add_f64 v[28:29], v[28:29], v[228:229]
	v_add_f64 v[152:153], v[40:41], v[152:153]
	v_add_f64 v[40:41], v[220:221], -v[12:13]
	v_fma_f64 v[218:219], v[50:51], s[4:5], v[58:59]
	v_fma_f64 v[64:65], v[50:51], s[6:7], v[64:65]
	v_add_f64 v[247:248], v[10:11], v[16:17]
	v_add_f64 v[10:11], v[190:191], v[144:145]
	;; [unrolled: 1-line block ×3, first 2 shown]
	v_add_f64 v[82:83], v[106:107], -v[194:195]
	v_add_f64 v[106:107], v[235:236], -v[228:229]
	;; [unrolled: 1-line block ×4, first 2 shown]
	v_add_f64 v[190:191], v[30:31], v[118:119]
	v_add_f64 v[198:199], v[202:203], -v[192:193]
	v_add_f64 v[202:203], v[216:217], v[212:213]
	v_add_f64 v[212:213], v[30:31], -v[118:119]
	v_fma_f64 v[216:217], v[100:101], s[4:5], v[42:43]
	v_fma_f64 v[100:101], v[100:101], s[6:7], v[52:53]
	v_add_f64 v[52:53], v[20:21], v[44:45]
	v_add_f64 v[10:11], v[62:63], v[10:11]
	;; [unrolled: 1-line block ×4, first 2 shown]
	v_add_f64 v[16:17], v[36:37], -v[30:31]
	v_add_f64 v[36:37], v[36:37], -v[120:121]
	v_add_f64 v[60:61], v[60:61], v[202:203]
	v_add_f64 v[4:5], v[194:195], v[10:11]
	v_fma_f64 v[194:195], v[92:93], s[10:11], v[158:159]
	v_fma_f64 v[158:159], v[92:93], s[8:9], v[158:159]
	v_add_f64 v[188:189], v[16:17], v[188:189]
	v_fma_f64 v[16:17], v[62:63], -0.5, v[2:3]
	v_fma_f64 v[62:63], v[190:191], -0.5, v[2:3]
	v_add_f64 v[190:191], v[30:31], v[196:197]
	v_fma_f64 v[30:31], v[40:41], s[8:9], v[84:85]
	v_fma_f64 v[84:85], v[40:41], s[10:11], v[84:85]
	v_add_f64 v[2:3], v[12:13], v[90:91]
	v_fma_f64 v[90:91], v[54:55], s[10:11], v[140:141]
	v_fma_f64 v[140:141], v[54:55], s[8:9], v[140:141]
	v_add_f64 v[12:13], v[192:193], v[18:19]
	v_add_f64 v[10:11], v[28:29], v[224:225]
	v_fma_f64 v[18:19], v[82:83], s[8:9], v[34:35]
	v_fma_f64 v[28:29], v[82:83], s[10:11], v[34:35]
	;; [unrolled: 1-line block ×4, first 2 shown]
	v_add_f64 v[34:35], v[88:89], v[32:33]
	v_add_f64 v[32:33], v[56:57], v[46:47]
	v_fma_f64 v[46:47], v[104:105], s[10:11], v[80:81]
	v_fma_f64 v[56:57], v[104:105], s[8:9], v[80:81]
	;; [unrolled: 1-line block ×43, first 2 shown]
	v_add_f64 v[200:201], v[146:147], -v[156:157]
	v_fma_f64 v[140:141], v[182:183], s[6:7], v[140:141]
	v_fma_f64 v[158:159], v[38:39], s[4:5], v[158:159]
	;; [unrolled: 1-line block ×28, first 2 shown]
	v_add_f64 v[104:105], v[190:191], v[118:119]
	v_add_f64 v[118:119], v[124:125], -v[130:131]
	v_fma_f64 v[140:141], v[214:215], s[8:9], v[210:211]
	v_fma_f64 v[144:145], v[8:9], v[180:181], v[150:151]
	v_add_f64 v[150:151], v[132:133], v[142:143]
	v_add_f64 v[152:153], v[170:171], -v[122:123]
	v_add_f64 v[154:155], v[130:131], -v[124:125]
	v_add_f64 v[158:159], v[108:109], v[186:187]
	v_fma_f64 v[160:161], v[200:201], s[10:11], v[178:179]
	v_add_f64 v[8:9], v[96:97], v[162:163]
	s_waitcnt vmcnt(0)
	ds_read_b64 v[162:163], v6
	v_fma_f64 v[182:183], v[182:183], s[4:5], v[22:23]
	v_fma_f64 v[22:23], v[26:27], s[0:1], v[30:31]
	v_fma_f64 v[26:27], v[26:27], s[0:1], v[84:85]
	v_fma_f64 v[18:19], v[98:99], s[0:1], v[90:91]
	v_fma_f64 v[30:31], v[98:99], s[0:1], v[40:41]
	v_fma_f64 v[58:59], v[168:169], s[0:1], v[216:217]
	v_fma_f64 v[62:63], v[168:169], s[0:1], v[100:101]
	v_fma_f64 v[84:85], v[241:242], s[0:1], v[106:107]
	v_fma_f64 v[98:99], v[245:246], s[0:1], v[166:167]
	v_add_f64 v[106:107], v[146:147], v[156:157]
	v_add_f64 v[166:167], v[136:137], v[126:127]
	;; [unrolled: 1-line block ×5, first 2 shown]
	v_fma_f64 v[110:111], v[200:201], s[4:5], v[140:141]
	v_fma_f64 v[140:141], v[150:151], -0.5, v[0:1]
	v_fma_f64 v[164:165], v[200:201], s[8:9], v[178:179]
	v_add_f64 v[150:151], v[152:153], v[154:155]
	v_fma_f64 v[96:97], v[188:189], s[0:1], v[235:236]
	s_waitcnt lgkmcnt(0)
	v_fma_f64 v[154:155], v[158:159], -0.5, v[162:163]
	v_fma_f64 v[158:159], v[214:215], s[4:5], v[160:161]
	v_add_f64 v[160:161], v[108:109], v[162:163]
	v_fma_f64 v[68:69], v[176:177], s[0:1], v[182:183]
	v_fma_f64 v[100:101], v[188:189], s[0:1], v[249:250]
	v_add_f64 v[122:123], v[122:123], -v[124:125]
	v_add_f64 v[176:177], v[142:143], -v[156:157]
	;; [unrolled: 1-line block ×5, first 2 shown]
	v_add_f64 v[118:119], v[138:139], v[144:145]
	v_add_f64 v[120:121], v[170:171], -v[130:131]
	v_fma_f64 v[106:107], v[106:107], -0.5, v[0:1]
	v_fma_f64 v[162:163], v[166:167], -0.5, v[162:163]
	v_add_f64 v[166:167], v[124:125], v[168:169]
	v_fma_f64 v[168:169], v[172:173], -0.5, v[134:135]
	v_add_f64 v[172:173], v[136:137], -v[126:127]
	v_add_f64 v[0:1], v[0:1], v[146:147]
	v_add_f64 v[124:125], v[132:133], -v[146:147]
	v_fma_f64 v[164:165], v[214:215], s[6:7], v[164:165]
	v_add_f64 v[146:147], v[136:137], -v[108:109]
	v_add_f64 v[108:109], v[108:109], -v[136:137]
	v_add_f64 v[170:171], v[134:135], v[128:129]
	v_fma_f64 v[66:67], v[174:175], s[0:1], v[218:219]
	v_add_f64 v[160:161], v[136:137], v[160:161]
	v_add_f64 v[136:137], v[186:187], -v[126:127]
	v_add_f64 v[152:153], v[138:139], -v[144:145]
	;; [unrolled: 1-line block ×3, first 2 shown]
	v_add_f64 v[54:55], v[86:87], v[60:61]
	v_fma_f64 v[20:21], v[148:149], s[0:1], v[194:195]
	v_fma_f64 v[24:25], v[148:149], s[0:1], v[82:83]
	;; [unrolled: 1-line block ×3, first 2 shown]
	v_fma_f64 v[118:119], v[118:119], -0.5, v[134:135]
	v_fma_f64 v[90:91], v[243:244], s[0:1], v[198:199]
	v_fma_f64 v[148:149], v[214:215], s[10:11], v[210:211]
	;; [unrolled: 1-line block ×4, first 2 shown]
	v_add_f64 v[194:195], v[138:139], -v[128:129]
	v_add_f64 v[196:197], v[144:145], -v[14:15]
	v_add_f64 v[0:1], v[132:133], v[0:1]
	v_fma_f64 v[132:133], v[172:173], s[10:11], v[168:169]
	v_add_f64 v[176:177], v[124:125], v[176:177]
	v_fma_f64 v[124:125], v[150:151], s[0:1], v[164:165]
	v_fma_f64 v[198:199], v[172:173], s[8:9], v[168:169]
	v_add_f64 v[170:171], v[138:139], v[170:171]
	v_add_f64 v[128:129], v[128:129], -v[138:139]
	v_add_f64 v[126:127], v[126:127], v[160:161]
	v_add_f64 v[138:139], v[14:15], -v[144:145]
	v_fma_f64 v[190:191], v[152:153], s[8:9], v[154:155]
	v_fma_f64 v[154:155], v[152:153], s[10:11], v[154:155]
	;; [unrolled: 1-line block ×4, first 2 shown]
	v_add_f64 v[134:135], v[156:157], -v[142:143]
	v_fma_f64 v[184:185], v[120:121], s[8:9], v[140:141]
	v_fma_f64 v[202:203], v[182:183], s[10:11], v[118:119]
	v_fma_f64 v[140:141], v[120:121], s[10:11], v[140:141]
	v_fma_f64 v[118:119], v[182:183], s[8:9], v[118:119]
	v_fma_f64 v[148:149], v[200:201], s[6:7], v[148:149]
	v_fma_f64 v[178:179], v[120:121], s[6:7], v[178:179]
	v_fma_f64 v[200:201], v[120:121], s[4:5], v[106:107]
	v_add_f64 v[146:147], v[146:147], v[188:189]
	v_add_f64 v[168:169], v[108:109], v[136:137]
	v_fma_f64 v[164:165], v[182:183], s[6:7], v[132:133]
	v_fma_f64 v[120:121], v[150:151], s[0:1], v[158:159]
	v_add_f64 v[0:1], v[0:1], v[142:143]
	v_mov_b32_e32 v233, v113
	v_add_f64 v[144:145], v[170:171], v[144:145]
	v_fma_f64 v[106:107], v[104:105], s[0:1], v[110:111]
	v_add_f64 v[132:133], v[186:187], v[126:127]
	s_clause 0x1
	buffer_load_dword v126, off, s[56:59], 0 offset:8
	buffer_load_dword v127, off, s[56:59], 0 offset:12
	v_fma_f64 v[160:161], v[174:175], s[4:5], v[190:191]
	v_fma_f64 v[154:155], v[174:175], s[6:7], v[154:155]
	;; [unrolled: 1-line block ×4, first 2 shown]
	v_add_f64 v[162:163], v[194:195], v[196:197]
	v_fma_f64 v[174:175], v[182:183], s[4:5], v[198:199]
	v_add_f64 v[150:151], v[128:129], v[138:139]
	v_fma_f64 v[158:159], v[172:173], s[4:5], v[202:203]
	;; [unrolled: 2-line block ×3, first 2 shown]
	v_fma_f64 v[122:123], v[122:123], s[4:5], v[140:141]
	v_add_f64 v[128:129], v[130:131], v[166:167]
	v_fma_f64 v[166:167], v[172:173], s[6:7], v[118:119]
	v_fma_f64 v[110:111], v[104:105], s[0:1], v[148:149]
	;; [unrolled: 1-line block ×6, first 2 shown]
	v_add_f64 v[130:131], v[144:145], v[14:15]
	v_lshlrev_b64 v[14:15], 4, v[232:233]
	v_fma_f64 v[102:103], v[245:246], s[0:1], v[208:209]
	v_fma_f64 v[40:41], v[94:95], s[0:1], v[80:81]
	;; [unrolled: 1-line block ×22, first 2 shown]
	s_waitcnt vmcnt(1)
	v_add_co_u32 v112, vcc_lo, s2, v126
	s_waitcnt vmcnt(0)
	v_add_co_ci_u32_e32 v126, vcc_lo, s3, v127, vcc_lo
	v_add_co_u32 v14, vcc_lo, v112, v14
	v_add_co_ci_u32_e32 v15, vcc_lo, v126, v15, vcc_lo
	v_add_f64 v[126:127], v[0:1], v[156:157]
	v_mul_hi_u32 v112, 0x44d72045, v251
	v_add_co_u32 v0, vcc_lo, 0x800, v14
	v_add_co_ci_u32_e32 v1, vcc_lo, 0, v15, vcc_lo
	global_store_dwordx4 v[14:15], v[130:133], off
	v_add_co_u32 v130, vcc_lo, 0x1000, v14
	v_lshrrev_b32_e32 v112, 5, v112
	v_add_co_ci_u32_e32 v131, vcc_lo, 0, v15, vcc_lo
	v_add_co_u32 v132, vcc_lo, 0x1800, v14
	v_mul_u32_u24_e32 v112, 0x1dc, v112
	v_add_co_ci_u32_e32 v133, vcc_lo, 0, v15, vcc_lo
	global_store_dwordx4 v[14:15], v[146:149], off offset:1904
	global_store_dwordx4 v[0:1], v[138:141], off offset:1760
	;; [unrolled: 1-line block ×5, first 2 shown]
	v_lshlrev_b64 v[126:127], 4, v[112:113]
	global_store_dwordx4 v[0:1], v[122:125], off offset:128
	global_store_dwordx4 v[0:1], v[108:111], off offset:2032
	;; [unrolled: 1-line block ×3, first 2 shown]
	v_mul_hi_u32 v106, 0x44d72045, v117
	global_store_dwordx4 v[132:133], v[118:121], off offset:1744
	v_add_co_u32 v0, vcc_lo, v14, v126
	v_add_co_ci_u32_e32 v1, vcc_lo, v15, v127, vcc_lo
	v_lshrrev_b32_e32 v108, 5, v106
	v_add_co_u32 v104, vcc_lo, 0x220, v0
	v_add_co_ci_u32_e32 v105, vcc_lo, 0, v1, vcc_lo
	v_add_co_u32 v106, vcc_lo, 0x1000, v0
	v_mul_u32_u24_e32 v112, 0x1dc, v108
	v_add_co_ci_u32_e32 v107, vcc_lo, 0, v1, vcc_lo
	v_add_co_u32 v108, vcc_lo, 0x1800, v0
	v_add_co_ci_u32_e32 v109, vcc_lo, 0, v1, vcc_lo
	global_store_dwordx4 v[0:1], v[6:9], off offset:544
	v_lshlrev_b64 v[0:1], 4, v[112:113]
	global_store_dwordx4 v[104:105], v[100:103], off offset:1904
	global_store_dwordx4 v[106:107], v[92:95], off offset:256
	;; [unrolled: 1-line block ×4, first 2 shown]
	v_mul_hi_u32 v88, 0x44d72045, v116
	v_add_co_u32 v0, vcc_lo, v14, v0
	v_add_co_ci_u32_e32 v1, vcc_lo, v15, v1, vcc_lo
	v_add_co_u32 v6, vcc_lo, 0x330, v0
	global_store_dwordx4 v[0:1], v[52:55], off offset:816
	v_lshrrev_b32_e32 v54, 5, v88
	v_add_co_ci_u32_e32 v7, vcc_lo, 0, v1, vcc_lo
	v_add_co_u32 v8, vcc_lo, 0x1000, v0
	v_mul_u32_u24_e32 v112, 0x1dc, v54
	v_add_co_ci_u32_e32 v9, vcc_lo, 0, v1, vcc_lo
	v_add_co_u32 v52, vcc_lo, 0x1800, v0
	v_add_co_ci_u32_e32 v53, vcc_lo, 0, v1, vcc_lo
	v_lshlrev_b64 v[54:55], 4, v[112:113]
	v_add_co_u32 v0, vcc_lo, 0x2000, v0
	v_add_co_ci_u32_e32 v1, vcc_lo, 0, v1, vcc_lo
	global_store_dwordx4 v[6:7], v[84:87], off offset:1904
	global_store_dwordx4 v[8:9], v[76:79], off offset:528
	;; [unrolled: 1-line block ×4, first 2 shown]
	v_mul_hi_u32 v52, 0x44d72045, v115
	v_add_co_u32 v0, vcc_lo, v14, v54
	v_add_co_ci_u32_e32 v1, vcc_lo, v15, v55, vcc_lo
	v_add_co_u32 v6, vcc_lo, 0x440, v0
	global_store_dwordx4 v[0:1], v[32:35], off offset:1088
	v_lshrrev_b32_e32 v34, 5, v52
	v_add_co_ci_u32_e32 v7, vcc_lo, 0, v1, vcc_lo
	v_add_co_u32 v8, vcc_lo, 0x1000, v0
	v_add_co_ci_u32_e32 v9, vcc_lo, 0, v1, vcc_lo
	v_mul_u32_u24_e32 v112, 0x1dc, v34
	v_add_co_u32 v32, vcc_lo, 0x1800, v0
	v_add_co_ci_u32_e32 v33, vcc_lo, 0, v1, vcc_lo
	v_add_co_u32 v0, vcc_lo, 0x2000, v0
	v_lshlrev_b64 v[34:35], 4, v[112:113]
	v_add_co_ci_u32_e32 v1, vcc_lo, 0, v1, vcc_lo
	global_store_dwordx4 v[6:7], v[68:71], off offset:1904
	global_store_dwordx4 v[8:9], v[60:63], off offset:800
	;; [unrolled: 1-line block ×4, first 2 shown]
	v_mul_hi_u32 v32, 0x44d72045, v114
	v_add_co_u32 v0, vcc_lo, v14, v34
	v_add_co_ci_u32_e32 v1, vcc_lo, v15, v35, vcc_lo
	v_add_co_u32 v6, vcc_lo, 0x550, v0
	v_lshrrev_b32_e32 v34, 5, v32
	v_add_co_ci_u32_e32 v7, vcc_lo, 0, v1, vcc_lo
	v_add_co_u32 v8, vcc_lo, 0x1000, v0
	v_add_co_ci_u32_e32 v9, vcc_lo, 0, v1, vcc_lo
	v_mul_u32_u24_e32 v112, 0x1dc, v34
	v_add_co_u32 v32, vcc_lo, 0x1800, v0
	v_add_co_ci_u32_e32 v33, vcc_lo, 0, v1, vcc_lo
	global_store_dwordx4 v[0:1], v[10:13], off offset:1360
	global_store_dwordx4 v[6:7], v[48:51], off offset:1904
	;; [unrolled: 1-line block ×4, first 2 shown]
	v_lshlrev_b64 v[6:7], 4, v[112:113]
	v_add_co_u32 v0, vcc_lo, 0x2000, v0
	v_add_co_ci_u32_e32 v1, vcc_lo, 0, v1, vcc_lo
	v_add_co_u32 v6, vcc_lo, v14, v6
	v_add_co_ci_u32_e32 v7, vcc_lo, v15, v7, vcc_lo
	global_store_dwordx4 v[0:1], v[36:39], off offset:784
	v_add_co_u32 v0, vcc_lo, 0x660, v6
	v_add_co_ci_u32_e32 v1, vcc_lo, 0, v7, vcc_lo
	v_add_co_u32 v8, vcc_lo, 0x1000, v6
	v_add_co_ci_u32_e32 v9, vcc_lo, 0, v7, vcc_lo
	;; [unrolled: 2-line block ×4, first 2 shown]
	global_store_dwordx4 v[6:7], v[2:5], off offset:1632
	global_store_dwordx4 v[0:1], v[28:31], off offset:1904
	;; [unrolled: 1-line block ×5, first 2 shown]
.LBB0_20:
	s_endpgm
	.section	.rodata,"a",@progbits
	.p2align	6, 0x0
	.amdhsa_kernel fft_rtc_back_len595_factors_7_17_5_wgs_51_tpt_17_halfLds_dp_ip_CI_unitstride_sbrr_dirReg
		.amdhsa_group_segment_fixed_size 0
		.amdhsa_private_segment_fixed_size 456
		.amdhsa_kernarg_size 88
		.amdhsa_user_sgpr_count 6
		.amdhsa_user_sgpr_private_segment_buffer 1
		.amdhsa_user_sgpr_dispatch_ptr 0
		.amdhsa_user_sgpr_queue_ptr 0
		.amdhsa_user_sgpr_kernarg_segment_ptr 1
		.amdhsa_user_sgpr_dispatch_id 0
		.amdhsa_user_sgpr_flat_scratch_init 0
		.amdhsa_user_sgpr_private_segment_size 0
		.amdhsa_wavefront_size32 1
		.amdhsa_uses_dynamic_stack 0
		.amdhsa_system_sgpr_private_segment_wavefront_offset 1
		.amdhsa_system_sgpr_workgroup_id_x 1
		.amdhsa_system_sgpr_workgroup_id_y 0
		.amdhsa_system_sgpr_workgroup_id_z 0
		.amdhsa_system_sgpr_workgroup_info 0
		.amdhsa_system_vgpr_workitem_id 0
		.amdhsa_next_free_vgpr 256
		.amdhsa_next_free_sgpr 60
		.amdhsa_reserve_vcc 1
		.amdhsa_reserve_flat_scratch 0
		.amdhsa_float_round_mode_32 0
		.amdhsa_float_round_mode_16_64 0
		.amdhsa_float_denorm_mode_32 3
		.amdhsa_float_denorm_mode_16_64 3
		.amdhsa_dx10_clamp 1
		.amdhsa_ieee_mode 1
		.amdhsa_fp16_overflow 0
		.amdhsa_workgroup_processor_mode 1
		.amdhsa_memory_ordered 1
		.amdhsa_forward_progress 0
		.amdhsa_shared_vgpr_count 0
		.amdhsa_exception_fp_ieee_invalid_op 0
		.amdhsa_exception_fp_denorm_src 0
		.amdhsa_exception_fp_ieee_div_zero 0
		.amdhsa_exception_fp_ieee_overflow 0
		.amdhsa_exception_fp_ieee_underflow 0
		.amdhsa_exception_fp_ieee_inexact 0
		.amdhsa_exception_int_div_zero 0
	.end_amdhsa_kernel
	.text
.Lfunc_end0:
	.size	fft_rtc_back_len595_factors_7_17_5_wgs_51_tpt_17_halfLds_dp_ip_CI_unitstride_sbrr_dirReg, .Lfunc_end0-fft_rtc_back_len595_factors_7_17_5_wgs_51_tpt_17_halfLds_dp_ip_CI_unitstride_sbrr_dirReg
                                        ; -- End function
	.section	.AMDGPU.csdata,"",@progbits
; Kernel info:
; codeLenInByte = 35452
; NumSgprs: 62
; NumVgprs: 256
; ScratchSize: 456
; MemoryBound: 1
; FloatMode: 240
; IeeeMode: 1
; LDSByteSize: 0 bytes/workgroup (compile time only)
; SGPRBlocks: 7
; VGPRBlocks: 31
; NumSGPRsForWavesPerEU: 62
; NumVGPRsForWavesPerEU: 256
; Occupancy: 4
; WaveLimiterHint : 1
; COMPUTE_PGM_RSRC2:SCRATCH_EN: 1
; COMPUTE_PGM_RSRC2:USER_SGPR: 6
; COMPUTE_PGM_RSRC2:TRAP_HANDLER: 0
; COMPUTE_PGM_RSRC2:TGID_X_EN: 1
; COMPUTE_PGM_RSRC2:TGID_Y_EN: 0
; COMPUTE_PGM_RSRC2:TGID_Z_EN: 0
; COMPUTE_PGM_RSRC2:TIDIG_COMP_CNT: 0
	.text
	.p2alignl 6, 3214868480
	.fill 48, 4, 3214868480
	.type	__hip_cuid_5ce969e6b4ff9021,@object ; @__hip_cuid_5ce969e6b4ff9021
	.section	.bss,"aw",@nobits
	.globl	__hip_cuid_5ce969e6b4ff9021
__hip_cuid_5ce969e6b4ff9021:
	.byte	0                               ; 0x0
	.size	__hip_cuid_5ce969e6b4ff9021, 1

	.ident	"AMD clang version 19.0.0git (https://github.com/RadeonOpenCompute/llvm-project roc-6.4.0 25133 c7fe45cf4b819c5991fe208aaa96edf142730f1d)"
	.section	".note.GNU-stack","",@progbits
	.addrsig
	.addrsig_sym __hip_cuid_5ce969e6b4ff9021
	.amdgpu_metadata
---
amdhsa.kernels:
  - .args:
      - .actual_access:  read_only
        .address_space:  global
        .offset:         0
        .size:           8
        .value_kind:     global_buffer
      - .offset:         8
        .size:           8
        .value_kind:     by_value
      - .actual_access:  read_only
        .address_space:  global
        .offset:         16
        .size:           8
        .value_kind:     global_buffer
      - .actual_access:  read_only
        .address_space:  global
        .offset:         24
        .size:           8
        .value_kind:     global_buffer
      - .offset:         32
        .size:           8
        .value_kind:     by_value
      - .actual_access:  read_only
        .address_space:  global
        .offset:         40
        .size:           8
        .value_kind:     global_buffer
      - .actual_access:  read_only
        .address_space:  global
        .offset:         48
        .size:           8
        .value_kind:     global_buffer
      - .offset:         56
        .size:           4
        .value_kind:     by_value
      - .actual_access:  read_only
        .address_space:  global
        .offset:         64
        .size:           8
        .value_kind:     global_buffer
      - .actual_access:  read_only
        .address_space:  global
        .offset:         72
        .size:           8
        .value_kind:     global_buffer
      - .address_space:  global
        .offset:         80
        .size:           8
        .value_kind:     global_buffer
    .group_segment_fixed_size: 0
    .kernarg_segment_align: 8
    .kernarg_segment_size: 88
    .language:       OpenCL C
    .language_version:
      - 2
      - 0
    .max_flat_workgroup_size: 51
    .name:           fft_rtc_back_len595_factors_7_17_5_wgs_51_tpt_17_halfLds_dp_ip_CI_unitstride_sbrr_dirReg
    .private_segment_fixed_size: 456
    .sgpr_count:     62
    .sgpr_spill_count: 0
    .symbol:         fft_rtc_back_len595_factors_7_17_5_wgs_51_tpt_17_halfLds_dp_ip_CI_unitstride_sbrr_dirReg.kd
    .uniform_work_group_size: 1
    .uses_dynamic_stack: false
    .vgpr_count:     256
    .vgpr_spill_count: 115
    .wavefront_size: 32
    .workgroup_processor_mode: 1
amdhsa.target:   amdgcn-amd-amdhsa--gfx1030
amdhsa.version:
  - 1
  - 2
...

	.end_amdgpu_metadata
